;; amdgpu-corpus repo=ROCm/aiter kind=harvested arch=n/a opt=n/a

/root/src/amdgpu-assembly/repos/ROCm__aiter/hsa/gfx942/fmha_v3_bwd/bwd_hd64_fp16_a16.co:	file format elf64-amdgpu

Disassembly of section .text:

0000000000003e00 <_ZN5aiter22fmha_bwd_hd64_fp16_a16E>:
	s_and_b32 s1, s1, 0xffff                                   // 000000003E00: 8601FF01 0000FFFF
	s_load_dwordx2 s[32:33], s[0:1], 0x0                       // 000000003E08: C0060800 00000000
	s_load_dwordx2 s[36:37], s[0:1], 0x10                      // 000000003E10: C0060900 00000010
	s_load_dwordx2 s[40:41], s[0:1], 0x20                      // 000000003E18: C0060A00 00000020
	s_load_dwordx2 s[8:9], s[0:1], 0x30                        // 000000003E20: C0060200 00000030
	s_load_dwordx2 s[12:13], s[0:1], 0x40                      // 000000003E28: C0060300 00000040
	s_load_dwordx2 s[16:17], s[0:1], 0x50                      // 000000003E30: C0060400 00000050
	s_load_dwordx2 s[20:21], s[0:1], 0x60                      // 000000003E38: C0060500 00000060
	s_load_dwordx2 s[24:25], s[0:1], 0x70                      // 000000003E40: C0060600 00000070
	s_load_dwordx2 s[28:29], s[0:1], 0x80                      // 000000003E48: C0060700 00000080
	s_load_dword s48, s[0:1], 0x90                             // 000000003E50: C0020C00 00000090
	s_load_dword s49, s[0:1], 0xa0                             // 000000003E58: C0020C40 000000A0
	s_load_dword s50, s[0:1], 0xb0                             // 000000003E60: C0020C80 000000B0
	s_load_dword s51, s[0:1], 0xc0                             // 000000003E68: C0020CC0 000000C0
	s_load_dword s52, s[0:1], 0xd0                             // 000000003E70: C0020D00 000000D0
	s_load_dword s53, s[0:1], 0xe0                             // 000000003E78: C0020D40 000000E0
	s_load_dword s70, s[0:1], 0xf0                             // 000000003E80: C0021180 000000F0
	s_load_dword s44, s[0:1], 0x100                            // 000000003E88: C0020B00 00000100
	s_load_dword s5, s[0:1], 0x110                             // 000000003E90: C0020140 00000110
	s_load_dword s6, s[0:1], 0x120                             // 000000003E98: C0020180 00000120
	s_load_dword s7, s[0:1], 0x130                             // 000000003EA0: C00201C0 00000130
	s_load_dword s46, s[0:1], 0x140                            // 000000003EA8: C0020B80 00000140
	s_load_dword s85, s[0:1], 0x180                            // 000000003EB0: C0021540 00000180
	s_load_dword s84, s[0:1], 0x240                            // 000000003EB8: C0021500 00000240
	v_lshrrev_b32_e32 v1, 10, v0                               // 000000003EC0: 2002008A
	v_lshrrev_b32_e32 v2, 10, v1                               // 000000003EC4: 2004028A
	v_and_b32_e32 v2, 0x3ff, v2                                // 000000003EC8: 260404FF 000003FF
	v_and_b32_e32 v1, 0x3ff, v1                                // 000000003ED0: 260202FF 000003FF
	v_and_b32_e32 v0, 0x3ff, v0                                // 000000003ED8: 260000FF 000003FF
	v_lshrrev_b32_e32 v3, 6, v0                                // 000000003EE0: 20060086
	v_and_b32_e32 v0, 63, v0                                   // 000000003EE4: 260000BF
	s_mov_b32 s2, s2                                           // 000000003EE8: BE820002
	s_mov_b32 s3, s3                                           // 000000003EEC: BE830003
	s_mov_b32 s4, s4                                           // 000000003EF0: BE840004
	v_readfirstlane_b32 s47, v3                                // 000000003EF4: 7E5E0503
	s_waitcnt lgkmcnt(0)                                       // 000000003EF8: BF8CC07F
	s_mov_b32 s10, 0x80000000                                  // 000000003EFC: BE8A00FF 80000000
	s_mov_b32 s14, 0x80000000                                  // 000000003F04: BE8E00FF 80000000
	s_mov_b32 s18, 0x80000000                                  // 000000003F0C: BE9200FF 80000000
	s_mov_b32 s22, 0x80000000                                  // 000000003F14: BE9600FF 80000000
	s_mov_b32 s26, 0x80000000                                  // 000000003F1C: BE9A00FF 80000000
	s_mov_b32 s30, 0x80000000                                  // 000000003F24: BE9E00FF 80000000
	s_mov_b32 s34, 0x80000000                                  // 000000003F2C: BEA200FF 80000000
	s_mov_b32 s38, 0x80000000                                  // 000000003F34: BEA600FF 80000000
	s_mov_b32 s42, 0x80000000                                  // 000000003F3C: BEAA00FF 80000000
	s_mov_b32 s11, 0x20000                                     // 000000003F44: BE8B00FF 00020000
	s_mov_b32 s15, 0x20000                                     // 000000003F4C: BE8F00FF 00020000
	s_mov_b32 s19, 0x20000                                     // 000000003F54: BE9300FF 00020000
	s_mov_b32 s23, 0x20000                                     // 000000003F5C: BE9700FF 00020000
	s_mov_b32 s27, 0x20000                                     // 000000003F64: BE9B00FF 00020000
	s_mov_b32 s31, 0x20000                                     // 000000003F6C: BE9F00FF 00020000
	s_mov_b32 s35, 0x20000                                     // 000000003F74: BEA300FF 00020000
	s_mov_b32 s39, 0x20000                                     // 000000003F7C: BEA700FF 00020000
	s_mov_b32 s43, 0x20000                                     // 000000003F84: BEAB00FF 00020000
	s_and_b32 s9, s9, 0xffff                                   // 000000003F8C: 8609FF09 0000FFFF
	s_and_b32 s13, s13, 0xffff                                 // 000000003F94: 860DFF0D 0000FFFF
	s_and_b32 s17, s17, 0xffff                                 // 000000003F9C: 8611FF11 0000FFFF
	s_and_b32 s21, s21, 0xffff                                 // 000000003FA4: 8615FF15 0000FFFF
	s_and_b32 s25, s25, 0xffff                                 // 000000003FAC: 8619FF19 0000FFFF
	s_and_b32 s29, s29, 0xffff                                 // 000000003FB4: 861DFF1D 0000FFFF
	s_and_b32 s33, s33, 0xffff                                 // 000000003FBC: 8621FF21 0000FFFF
	s_and_b32 s37, s37, 0xffff                                 // 000000003FC4: 8625FF25 0000FFFF
	s_and_b32 s41, s41, 0xffff                                 // 000000003FCC: 8629FF29 0000FFFF
	s_or_b32 s9, s9, 0x40000                                   // 000000003FD4: 8709FF09 00040000
	s_or_b32 s13, s13, 0x40000                                 // 000000003FDC: 870DFF0D 00040000
	s_or_b32 s17, s17, 0x40000                                 // 000000003FE4: 8711FF11 00040000
	s_or_b32 s21, s21, 0x40000                                 // 000000003FEC: 8715FF15 00040000
	s_or_b32 s25, s25, 0x40000                                 // 000000003FF4: 8719FF19 00040000
	s_or_b32 s29, s29, 0x40000                                 // 000000003FFC: 871DFF1D 00040000
	s_or_b32 s33, s33, 0x40000                                 // 000000004004: 8721FF21 00040000
	s_or_b32 s37, s37, 0x40000                                 // 00000000400C: 8725FF25 00040000
	s_or_b32 s41, s41, 0x40000                                 // 000000004014: 8729FF29 00040000
	v_accvgpr_write_b32 a159, 0                                // 00000000401C: D3D9409F 18000080
	v_mov_b32_e32 v226, 0                                      // 000000004024: 7FC40280
	s_mov_b32 s76, s8                                          // 000000004028: BECC0008
	s_mov_b32 s78, s12                                         // 00000000402C: BECE000C
	s_mov_b32 s80, s16                                         // 000000004030: BED00010
	s_mov_b32 s82, s20                                         // 000000004034: BED20014
	s_mov_b32 s77, s9                                          // 000000004038: BECD0009
	s_mov_b32 s79, s13                                         // 00000000403C: BECF000D
	s_mov_b32 s81, s17                                         // 000000004040: BED10011
	s_mov_b32 s83, s21                                         // 000000004044: BED30015
	s_mov_b32 s71, s3                                          // 000000004048: BEC70003
	v_cvt_f32_u32_e32 v32, s44                                 // 00000000404C: 7E400C2C
	s_sub_i32 s60, 0, s44                                      // 000000004050: 81BC2C80
	v_rcp_iflag_f32_e32 v32, v32                               // 000000004054: 7E404720
	s_nop 0                                                    // 000000004058: BF800000
	v_mul_f32_e32 v32, 0x4f7ffffe, v32                         // 00000000405C: 0A4040FF 4F7FFFFE
	v_cvt_u32_f32_e32 v32, v32                                 // 000000004064: 7E400F20
	v_mul_lo_u32 v33, s60, v32                                 // 000000004068: D2850021 0002403C
	v_mul_hi_u32 v33, v32, v33                                 // 000000004070: D2860021 00024320
	v_add_u32_e32 v32, v32, v33                                // 000000004078: 68404320
	v_mul_hi_u32 v32, s71, v32                                 // 00000000407C: D2860020 00024047
	v_mul_lo_u32 v33, v32, s44                                 // 000000004084: D2850021 00005920
	v_sub_u32_e32 v35, s71, v33                                // 00000000408C: 6A464247
	v_add_u32_e32 v34, 1, v32                                  // 000000004090: 68444081
	v_cmp_le_u32_e32 vcc, s44, v35                             // 000000004094: 7D96462C
	v_subrev_u32_e32 v33, s44, v35                             // 000000004098: 6C42462C
	s_nop 0                                                    // 00000000409C: BF800000
	v_cndmask_b32_e32 v32, v32, v34, vcc                       // 0000000040A0: 00404520
	v_cndmask_b32_e32 v35, v35, v33, vcc                       // 0000000040A4: 00464323
	v_add_u32_e32 v33, 1, v32                                  // 0000000040A8: 68424081
	v_cmp_le_u32_e32 vcc, s44, v35                             // 0000000040AC: 7D96462C
	s_nop 1                                                    // 0000000040B0: BF800001
	v_cndmask_b32_e32 v35, v32, v33, vcc                       // 0000000040B4: 00464320
	s_nop 3                                                    // 0000000040B8: BF800003
	v_readfirstlane_b32 s45, v35                               // 0000000040BC: 7E5A0523
	s_nop 3                                                    // 0000000040C0: BF800003
	v_mov_b32_e32 v32, s48                                     // 0000000040C4: 7E400230
	v_mul_f32_e32 v32, s49, v32                                // 0000000040C8: 0A404031
	s_mov_b32 s66, 0                                           // 0000000040CC: BEC20080
	s_mov_b32 s58, s50                                         // 0000000040D0: BEBA0032
	s_mov_b32 s59, 0                                           // 0000000040D4: BEBB0080
	s_mov_b32 s63, 0x5040100                                   // 0000000040D8: BEBF00FF 05040100
	s_mov_b32 s64, 0x7060302                                   // 0000000040E0: BEC000FF 07060302
	v_readfirstlane_b32 s57, v32                               // 0000000040E8: 7E720520
	v_mov_b32_e32 v34, 0x3020706                               // 0000000040EC: 7E4402FF 03020706
	v_mov_b32_e32 v32, s63                                     // 0000000040F4: 7E40023F
	v_and_b32_e32 v33, 1, v0                                   // 0000000040F8: 26420081
	v_cmp_eq_u32_e32 vcc, 1, v33                               // 0000000040FC: 7D944281
	s_mul_i32 s67, 32, s70                                     // 000000004100: 924346A0
	v_cndmask_b32_e32 v17, v32, v34, vcc                       // 000000004104: 00224520
	s_cmp_lt_u32 s47, 2                                        // 000000004108: BF0A822F
	s_cselect_b32 s24, s24, s28                                // 00000000410C: 85181C18
	s_cselect_b32 s25, s25, s29                                // 000000004110: 85191D19
	s_cselect_b32 s26, s26, s30                                // 000000004114: 851A1E1A
	s_cselect_b32 s27, s27, s31                                // 000000004118: 851B1F1B
	s_lshr_b32 s60, s47, 1                                     // 00000000411C: 8F3C812F
	s_lshl_b32 s60, s60, 8                                     // 000000004120: 8E3C883C
	s_add_u32 s74, 0x8b00, s60                                 // 000000004124: 804A3CFF 00008B00
	s_add_u32 s75, 0x200, s74                                  // 00000000412C: 804B4AFF 00000200
	s_mov_b32 m0, s74                                          // 000000004134: BEFC004A
	v_mov_b32_e32 v226, 0xff800000                             // 000000004138: 7FC402FF FF800000
	s_mul_i32 s68, 32, s70                                     // 000000004140: 924446A0
	s_mov_b32 s69, 32                                          // 000000004144: BEC500A0
	s_mul_i32 s60, s2, s51                                     // 000000004148: 923C3302
	s_mul_i32 s61, s45, s5                                     // 00000000414C: 923D052D
	s_add_u32 s54, s60, s61                                    // 000000004150: 80363D3C
	s_mul_i32 s61, s3, s52                                     // 000000004154: 923D3403
	s_mov_b32 s55, s61                                         // 000000004158: BEB7003D
	s_mov_b32 s56, s55                                         // 00000000415C: BEB80037
	s_mul_i32 s62, s4, s85                                     // 000000004160: 923E5504
	s_mul_i32 s62, s62, s84                                    // 000000004164: 923E543E
	s_mul_i32 s61, s3, s84                                     // 000000004168: 923D5403
	s_add_u32 s65, s61, s62                                    // 00000000416C: 80413E3D
	s_mov_b32 s71, s7                                          // 000000004170: BEC70007
	v_lshrrev_b32_e32 v32, 4, v0                               // 000000004174: 20400084
	v_and_b32_e32 v33, 1, v32                                  // 000000004178: 26424081
	v_lshlrev_b32_e32 v33, 1, v33                              // 00000000417C: 24424281
	v_mul_i32_i24_e32 v33, s71, v33                            // 000000004180: 0C424247
	v_and_b32_e32 v34, 2, v32                                  // 000000004184: 26444082
	v_lshlrev_b32_e32 v34, 5, v34                              // 000000004188: 24444485
	v_add_u32_e32 v33, v34, v33                                // 00000000418C: 68424322
	v_and_b32_e32 v32, 15, v0                                  // 000000004190: 2640008F
	v_lshlrev_b32_e32 v32, 2, v32                              // 000000004194: 24404082
	v_add_u32_e32 v1, v32, v33                                 // 000000004198: 68024320
	s_mul_i32 s60, s47, s71                                    // 00000000419C: 923C472F
	s_mul_i32 s60, s60, 4                                      // 0000000041A0: 923C843C
	v_add_u32_e32 v1, s60, v1                                  // 0000000041A4: 6802023C
	v_add_u32_e32 v2, s71, v1                                  // 0000000041A8: 68040247
	s_mul_i32 s60, 16, s71                                     // 0000000041AC: 923C4790
	v_add_u32_e32 v3, s60, v1                                  // 0000000041B0: 6806023C
	v_add_u32_e32 v4, s60, v2                                  // 0000000041B4: 6808043C
	v_lshrrev_b32_e32 v1, 2, v1                                // 0000000041B8: 20020282
	v_lshrrev_b32_e32 v2, 2, v2                                // 0000000041BC: 20040482
	s_add_u32 s12, s54, s78                                    // 0000000041C0: 800C4E36
	s_addc_u32 s13, 0, s79                                     // 0000000041C4: 820D4F80
	s_mul_i32 s60, s4, s6                                      // 0000000041C8: 923C0604
	s_mul_hi_u32 s61, s4, s6                                   // 0000000041CC: 963D0604
	s_and_b32 s61, s61, 0xffff                                 // 0000000041D0: 863DFF3D 0000FFFF
	s_add_u32 s12, s12, s60                                    // 0000000041D8: 800C3C0C
	s_addc_u32 s13, s13, s61                                   // 0000000041DC: 820D3D0D
	s_add_u32 s16, s54, s80                                    // 0000000041E0: 80105036
	s_addc_u32 s17, 0, s81                                     // 0000000041E4: 82115180
	s_add_u32 s16, s16, s60                                    // 0000000041E8: 80103C10
	s_addc_u32 s17, s17, s61                                   // 0000000041EC: 82113D11
	s_add_u32 s8, s55, s76                                     // 0000000041F0: 80084C37
	s_addc_u32 s9, 0, s77                                      // 0000000041F4: 82094D80
	s_mul_i32 s60, s4, s53                                     // 0000000041F8: 923C3504
	s_mul_hi_u32 s61, s4, s53                                  // 0000000041FC: 963D3504
	s_and_b32 s61, s61, 0xffff                                 // 000000004200: 863DFF3D 0000FFFF
	s_add_u32 s8, s8, s60                                      // 000000004208: 80083C08
	s_addc_u32 s9, s9, s61                                     // 00000000420C: 82093D09
	s_add_u32 s20, s56, s82                                    // 000000004210: 80145238
	s_addc_u32 s21, 0, s83                                     // 000000004214: 82155380
	s_add_u32 s20, s20, s60                                    // 000000004218: 80143C14
	s_addc_u32 s21, s21, s61                                   // 00000000421C: 82153D15
	v_and_b32_e32 v11, 31, v0                                  // 000000004220: 2616009F
	v_lshlrev_b32_e32 v11, 2, v11                              // 000000004224: 24161682
	v_add_u32_e32 v11, s65, v11                                // 000000004228: 68161641
	v_lshrrev_b32_e32 v11, 2, v11                              // 00000000422C: 20161682
	v_lshrrev_b32_e32 v32, 3, v0                               // 000000004230: 20400083
	v_mul_i32_i24_e32 v5, s46, v32                             // 000000004234: 0C0A402E
	v_lshrrev_b32_e32 v5, 2, v5                                // 000000004238: 200A0A82
	v_and_b32_e32 v32, 7, v0                                   // 00000000423C: 26400087
	v_lshlrev_b32_e32 v33, 2, v32                              // 000000004240: 24424082
	v_add_u32_e32 v5, v33, v5                                  // 000000004244: 680A0B21
	s_mul_i32 s60, 16, s46                                     // 000000004248: 923C2E90
	s_mul_i32 s60, s47, s60                                    // 00000000424C: 923C3C2F
	v_lshlrev_b32_e32 v5, 2, v5                                // 000000004250: 240A0A82
	v_add_u32_e32 v5, s60, v5                                  // 000000004254: 680A0A3C
	s_mul_i32 s60, 0xc0, s46                                   // 000000004258: 923C2EFF 000000C0
	s_mul_i32 s60, s2, s60                                     // 000000004260: 923C3C02
	s_mul_i32 s61, s3, s5                                      // 000000004264: 923D0503
	s_add_u32 s60, s60, s61                                    // 000000004268: 803C3D3C
	v_add_u32_e32 v5, s60, v5                                  // 00000000426C: 680A0A3C
	v_lshrrev_b32_e32 v5, 2, v5                                // 000000004270: 200A0A82
	v_mov_b32_e32 v6, v5                                       // 000000004274: 7E0C0305
	s_mul_i32 s60, s6, s44                                     // 000000004278: 923C2C06
	s_mul_i32 s62, s4, s60                                     // 00000000427C: 923E3C04
	s_mul_hi_u32 s60, s4, s60                                  // 000000004280: 963C3C04
	s_and_b32 s60, s60, 0xffff                                 // 000000004284: 863CFF3C 0000FFFF
	s_add_u32 s36, s36, s62                                    // 00000000428C: 80243E24
	s_addc_u32 s37, s37, s60                                   // 000000004290: 82253C25
	s_add_u32 s40, s40, s62                                    // 000000004294: 80283E28
	s_addc_u32 s41, s41, s60                                   // 000000004298: 82293C29
	v_lshrrev_b32_e32 v32, 5, v0                               // 00000000429C: 20400085
	v_mul_i32_i24_e32 v7, s70, v32                             // 0000000042A0: 0C0E4046
	v_lshrrev_b32_e32 v7, 2, v7                                // 0000000042A4: 200E0E82
	v_and_b32_e32 v32, 31, v0                                  // 0000000042A8: 2640009F
	v_add_u32_e32 v7, v32, v7                                  // 0000000042AC: 680E0F20
	s_mul_i32 s60, s70, 2                                      // 0000000042B0: 923C8246
	s_mul_i32 s60, s47, s60                                    // 0000000042B4: 923C3C2F
	v_add_u32_e32 v7, s60, v7                                  // 0000000042B8: 680E0E3C
	v_lshlrev_b32_e32 v7, 2, v7                                // 0000000042BC: 240E0E82
	s_mul_i32 s60, 2, s70                                      // 0000000042C0: 923C4682
	v_add_u32_e32 v8, s60, v7                                  // 0000000042C4: 68100E3C
	v_add_u32_e32 v9, s60, v8                                  // 0000000042C8: 6812103C
	v_add_u32_e32 v10, s60, v9                                 // 0000000042CC: 6814123C
	s_mov_b32 s72, s55                                         // 0000000042D0: BEC80037
	v_add_u32_e32 v7, s72, v7                                  // 0000000042D4: 680E0E48
	v_lshrrev_b32_e32 v7, 2, v7                                // 0000000042D8: 200E0E82
	v_add_u32_e32 v8, s72, v8                                  // 0000000042DC: 68101048
	v_lshrrev_b32_e32 v8, 2, v8                                // 0000000042E0: 20101082
	v_add_u32_e32 v9, s72, v9                                  // 0000000042E4: 68121248
	v_lshrrev_b32_e32 v9, 2, v9                                // 0000000042E8: 20121282
	v_add_u32_e32 v10, s72, v10                                // 0000000042EC: 68141448
	v_lshrrev_b32_e32 v10, 2, v10                              // 0000000042F0: 20141482
	s_mul_i32 s60, s4, s53                                     // 0000000042F4: 923C3504
	s_mul_hi_u32 s61, s4, s53                                  // 0000000042F8: 963D3504
	s_and_b32 s61, s61, 0xffff                                 // 0000000042FC: 863DFF3D 0000FFFF
	s_add_u32 s32, s32, s60                                    // 000000004304: 80203C20
	s_addc_u32 s33, s33, s61                                   // 000000004308: 82213D21
	s_mul_i32 s60, 3, s2                                       // 00000000430C: 923C0283
	s_lshr_b32 s61, s50, 6                                     // 000000004310: 8F3D8632
	s_sub_i32 s73, s61, s60                                    // 000000004314: 81C93C3D
	s_cmp_lt_i32 s73, 3                                        // 000000004318: BF048349
	s_cselect_b32 s73, s73, 3                                  // 00000000431C: 85498349
	v_and_b32_e32 v32, 31, v0                                  // 000000004320: 2640009F
	v_lshrrev_b32_e32 v32, 1, v32                              // 000000004324: 20404081
	v_and_b32_e32 v33, 1, v32                                  // 000000004328: 26424081
	v_lshlrev_b32_e32 v33, 4, v33                              // 00000000432C: 24424284
	v_and_b32_e32 v34, 2, v32                                  // 000000004330: 26444082
	v_lshlrev_b32_e32 v34, 2, v34                              // 000000004334: 24444482
	v_add_u32_e32 v33, v34, v33                                // 000000004338: 68424322
	v_and_b32_e32 v34, 12, v32                                 // 00000000433C: 2644408C
	v_lshrrev_b32_e32 v34, 1, v34                              // 000000004340: 20444481
	v_add_u32_e32 v33, v34, v33                                // 000000004344: 68424322
	v_lshrrev_b32_e32 v32, 5, v0                               // 000000004348: 20400085
	v_mul_i32_i24_e32 v34, 0x80, v32                           // 00000000434C: 0C4440FF 00000080
	v_add_u32_e32 v33, v34, v33                                // 000000004354: 68424322
	v_and_b32_e32 v34, 1, v0                                   // 000000004358: 26440081
	v_add_u32_e32 v13, v34, v33                                // 00000000435C: 681A4322
	s_mul_i32 s60, s47, 32                                     // 000000004360: 923CA02F
	v_add_u32_e32 v13, s60, v13                                // 000000004364: 681A1A3C
	v_lshlrev_b32_e32 v13, 2, v13                              // 000000004368: 241A1A82
	v_lshrrev_b32_e32 v32, 4, v0                               // 00000000436C: 20400084
	v_and_b32_e32 v33, 1, v32                                  // 000000004370: 26424081
	v_lshlrev_b32_e32 v33, 4, v33                              // 000000004374: 24424284
	v_and_b32_e32 v34, 2, v32                                  // 000000004378: 26444082
	v_mul_i32_i24_e32 v34, 4, v34                              // 00000000437C: 0C444484
	v_add_u32_e32 v33, v34, v33                                // 000000004380: 68424322
	v_and_b32_e32 v32, 15, v0                                  // 000000004384: 2640008F
	v_lshrrev_b32_e32 v34, 2, v32                              // 000000004388: 20444082
	v_lshlrev_b32_e32 v34, 5, v34                              // 00000000438C: 24444485
	v_add_u32_e32 v33, v34, v33                                // 000000004390: 68424322
	v_and_b32_e32 v32, 3, v0                                   // 000000004394: 26400083
	v_and_b32_e32 v34, 1, v32                                  // 000000004398: 26444081
	v_mul_i32_i24_e32 v34, 0x108, v34                          // 00000000439C: 0C4444FF 00000108
	v_add_u32_e32 v33, v34, v33                                // 0000000043A4: 68424322
	v_and_b32_e32 v34, 2, v32                                  // 0000000043A8: 26444082
	v_lshlrev_b32_e32 v34, 1, v34                              // 0000000043AC: 24444481
	v_add_u32_e32 v12, v34, v33                                // 0000000043B0: 68184322
	v_lshlrev_b32_e32 v12, 2, v12                              // 0000000043B4: 24181882
	s_mul_i32 s60, s47, 0x880                                  // 0000000043B8: 923CFF2F 00000880
	v_add_u32_e32 v24, s60, v12                                // 0000000043C0: 6830183C
	v_lshrrev_b32_e32 v32, 5, v0                               // 0000000043C4: 20400085
	v_mul_i32_i24_e32 v15, 0x80, v32                           // 0000000043C8: 0C1E40FF 00000080
	v_and_b32_e32 v32, 31, v0                                  // 0000000043D0: 2640009F
	v_and_b32_e32 v33, 7, v32                                  // 0000000043D4: 26424087
	v_and_b32_e32 v34, 1, v33                                  // 0000000043D8: 26444281
	v_lshlrev_b32_e32 v34, 2, v34                              // 0000000043DC: 24444482
	v_add_u32_e32 v15, v34, v15                                // 0000000043E0: 681E1F22
	v_and_b32_e32 v34, 2, v33                                  // 0000000043E4: 26444282
	v_lshlrev_b32_e32 v34, 3, v34                              // 0000000043E8: 24444483
	v_add_u32_e32 v15, v34, v15                                // 0000000043EC: 681E1F22
	v_and_b32_e32 v34, 4, v33                                  // 0000000043F0: 26444284
	v_lshlrev_b32_e32 v34, 1, v34                              // 0000000043F4: 24444481
	v_add_u32_e32 v15, v34, v15                                // 0000000043F8: 681E1F22
	v_lshrrev_b32_e32 v33, 3, v32                              // 0000000043FC: 20424083
	v_and_b32_e32 v34, 1, v33                                  // 000000004400: 26444281
	v_lshlrev_b32_e32 v34, 1, v34                              // 000000004404: 24444481
	v_add_u32_e32 v15, v34, v15                                // 000000004408: 681E1F22
	v_and_b32_e32 v34, 2, v33                                  // 00000000440C: 26444282
	v_lshrrev_b32_e32 v34, 1, v34                              // 000000004410: 20444481
	v_add_u32_e32 v15, v34, v15                                // 000000004414: 681E1F22
	s_mul_i32 s60, s47, 32                                     // 000000004418: 923CA02F
	v_add_u32_e32 v15, s60, v15                                // 00000000441C: 681E1E3C
	v_lshlrev_b32_e32 v15, 2, v15                              // 000000004420: 241E1E82
	v_and_b32_e32 v32, 15, v0                                  // 000000004424: 2640008F
	v_and_b32_e32 v34, 1, v32                                  // 000000004428: 26444081
	v_mul_i32_i24_e32 v14, 0x108, v34                          // 00000000442C: 0C1C44FF 00000108
	v_and_b32_e32 v34, 2, v32                                  // 000000004434: 26444082
	v_lshlrev_b32_e32 v34, 1, v34                              // 000000004438: 24444481
	v_add_u32_e32 v14, v34, v14                                // 00000000443C: 681C1D22
	v_and_b32_e32 v34, 4, v32                                  // 000000004440: 26444084
	v_lshlrev_b32_e32 v34, 2, v34                              // 000000004444: 24444482
	v_add_u32_e32 v14, v34, v14                                // 000000004448: 681C1D22
	v_and_b32_e32 v34, 8, v32                                  // 00000000444C: 26444088
	v_add_u32_e32 v14, v34, v14                                // 000000004450: 681C1D22
	v_lshrrev_b32_e32 v32, 4, v0                               // 000000004454: 20400084
	v_and_b32_e32 v34, 1, v32                                  // 000000004458: 26444081
	v_lshlrev_b32_e32 v34, 5, v34                              // 00000000445C: 24444485
	v_add_u32_e32 v14, v34, v14                                // 000000004460: 681C1D22
	v_and_b32_e32 v33, 2, v32                                  // 000000004464: 26424082
	v_mul_i32_i24_e32 v34, 32, v33                             // 000000004468: 0C4442A0
	v_mul_i32_i24_e32 v33, 0x110, v33                          // 00000000446C: 0C4242FF 00000110
	v_add_u32_e32 v25, v33, v14                                // 000000004474: 68321D21
	v_add_u32_e32 v14, v34, v14                                // 000000004478: 681C1D22
	v_lshlrev_b32_e32 v14, 2, v14                              // 00000000447C: 241C1C82
	v_lshlrev_b32_e32 v25, 2, v25                              // 000000004480: 24323282
	s_and_b32 s60, 1, s47                                      // 000000004484: 863C2F81
	s_mul_i32 s60, s60, 0x200                                  // 000000004488: 923CFF3C 00000200
	v_add_u32_e32 v25, s60, v25                                // 000000004490: 6832323C
	v_lshrrev_b32_e32 v32, 4, v0                               // 000000004494: 20400084
	v_mul_i32_i24_e32 v23, 4, v32                              // 000000004498: 0C2E4084
	v_and_b32_e32 v33, 3, v0                                   // 00000000449C: 26420083
	v_add_u32_e32 v23, v33, v23                                // 0000000044A0: 682E2F21
	v_lshlrev_b32_e32 v23, 2, v23                              // 0000000044A4: 242E2E82
	v_lshrrev_b32_e32 v32, 5, v0                               // 0000000044A8: 20400085
	v_mul_i32_i24_e32 v21, 2, v32                              // 0000000044AC: 0C2A4082
	v_and_b32_e32 v32, 31, v0                                  // 0000000044B0: 2640009F
	v_lshrrev_b32_e32 v32, 1, v32                              // 0000000044B4: 20404081
	v_mul_i32_i24_e32 v33, 34, v32                             // 0000000044B8: 0C4240A2
	v_add_u32_e32 v21, v33, v21                                // 0000000044BC: 682A2B21
	v_and_b32_e32 v33, 1, v0                                   // 0000000044C0: 26420081
	v_add_u32_e32 v21, v33, v21                                // 0000000044C4: 682A2B21
	s_and_b32 s60, 1, s47                                      // 0000000044C8: 863C2F81
	s_mul_i32 s60, s60, 16                                     // 0000000044CC: 923C903C
	s_lshr_b32 s61, s47, 1                                     // 0000000044D0: 8F3D812F
	s_mul_i32 s61, s61, 0x220                                  // 0000000044D4: 923DFF3D 00000220
	s_add_u32 s60, s60, s61                                    // 0000000044DC: 803C3D3C
	v_add_u32_e32 v21, s60, v21                                // 0000000044E0: 682A2A3C
	v_lshlrev_b32_e32 v21, 2, v21                              // 0000000044E4: 242A2A82
	v_lshrrev_b32_e32 v32, 4, v0                               // 0000000044E8: 20400084
	v_mul_i32_i24_e32 v22, 34, v32                             // 0000000044EC: 0C2C40A2
	v_and_b32_e32 v32, 15, v0                                  // 0000000044F0: 2640008F
	v_mul_i32_i24_e32 v33, 2, v32                              // 0000000044F4: 0C424082
	v_add_u32_e32 v22, v33, v22                                // 0000000044F8: 682C2D21
	s_mul_i32 s60, s47, 0x110                                  // 0000000044FC: 923CFF2F 00000110
	v_add_u32_e32 v22, s60, v22                                // 000000004504: 682C2C3C
	v_lshlrev_b32_e32 v22, 2, v22                              // 000000004508: 242C2C82
	v_lshrrev_b32_e32 v32, 5, v0                               // 00000000450C: 20400085
	v_mul_i32_i24_e32 v19, 64, v32                             // 000000004510: 0C2640C0
	v_and_b32_e32 v32, 31, v0                                  // 000000004514: 2640009F
	v_and_b32_e32 v32, 3, v32                                  // 000000004518: 26404083
	v_and_b32_e32 v33, 1, v32                                  // 00000000451C: 26424081
	v_mul_i32_i24_e32 v33, 4, v33                              // 000000004520: 0C424284
	v_add_u32_e32 v19, v33, v19                                // 000000004524: 68262721
	v_and_b32_e32 v33, 2, v32                                  // 000000004528: 26424082
	v_mul_i32_i24_e32 v33, 0x44, v33                           // 00000000452C: 0C4242FF 00000044
	v_add_u32_e32 v19, v33, v19                                // 000000004534: 68262721
	v_and_b32_e32 v32, 31, v0                                  // 000000004538: 2640009F
	v_lshrrev_b32_e32 v32, 2, v32                              // 00000000453C: 20404082
	v_lshrrev_b32_e32 v34, 2, v32                              // 000000004540: 20444082
	v_mul_i32_i24_e32 v33, 16, v34                             // 000000004544: 0C424490
	v_add_u32_e32 v19, v33, v19                                // 000000004548: 68262721
	v_and_b32_e32 v33, 2, v32                                  // 00000000454C: 26424082
	v_lshlrev_b32_e32 v33, 4, v33                              // 000000004550: 24424284
	v_add_u32_e32 v19, v33, v19                                // 000000004554: 68262721
	v_and_b32_e32 v33, 1, v32                                  // 000000004558: 26424081
	v_xor_b32_e32 v33, v34, v33                                // 00000000455C: 2A424322
	v_mul_i32_i24_e32 v33, 8, v33                              // 000000004560: 0C424288
	v_add_u32_e32 v19, v33, v19                                // 000000004564: 68262721
	s_lshr_b32 s60, s47, 1                                     // 000000004568: 8F3C812F
	s_mul_i32 s60, s60, 0x6c0                                  // 00000000456C: 923CFF3C 000006C0
	v_add_u32_e32 v19, s60, v19                                // 000000004574: 6826263C
	v_lshlrev_b32_e32 v19, 2, v19                              // 000000004578: 24262682
	v_lshrrev_b32_e32 v32, 5, v0                               // 00000000457C: 20400085
	v_mul_i32_i24_e32 v20, 32, v32                             // 000000004580: 0C2840A0
	v_and_b32_e32 v32, 31, v0                                  // 000000004584: 2640009F
	v_and_b32_e32 v32, 3, v32                                  // 000000004588: 26404083
	v_and_b32_e32 v33, 1, v32                                  // 00000000458C: 26424081
	v_mul_i32_i24_e32 v33, 4, v33                              // 000000004590: 0C424284
	v_add_u32_e32 v20, v33, v20                                // 000000004594: 68282921
	v_and_b32_e32 v33, 2, v32                                  // 000000004598: 26424082
	v_lshrrev_b32_e32 v33, 1, v33                              // 00000000459C: 20424281
	v_add_u32_e32 v20, v33, v20                                // 0000000045A0: 68282921
	v_and_b32_e32 v32, 31, v0                                  // 0000000045A4: 2640009F
	v_lshrrev_b32_e32 v32, 2, v32                              // 0000000045A8: 20404082
	v_and_b32_e32 v34, 1, v32                                  // 0000000045AC: 26444081
	v_mul_i32_i24_e32 v33, 16, v34                             // 0000000045B0: 0C424490
	v_add_u32_e32 v20, v33, v20                                // 0000000045B4: 68282921
	v_and_b32_e32 v33, 2, v32                                  // 0000000045B8: 26424082
	v_add_u32_e32 v20, v33, v20                                // 0000000045BC: 68282921
	v_lshrrev_b32_e32 v33, 2, v32                              // 0000000045C0: 20424082
	v_xor_b32_e32 v33, v34, v33                                // 0000000045C4: 2A424322
	v_mul_i32_i24_e32 v33, 8, v33                              // 0000000045C8: 0C424288
	v_add_u32_e32 v20, v33, v20                                // 0000000045CC: 68282921
	s_and_b32 s60, 1, s47                                      // 0000000045D0: 863C2F81
	s_mul_i32 s60, s60, 64                                     // 0000000045D4: 923CC03C
	s_lshr_b32 s61, s47, 1                                     // 0000000045D8: 8F3D812F
	s_mul_i32 s61, s61, 0x120                                  // 0000000045DC: 923DFF3D 00000120
	s_add_u32 s60, s60, s61                                    // 0000000045E4: 803C3D3C
	v_add_u32_e32 v20, s60, v20                                // 0000000045E8: 6828283C
	v_lshlrev_b32_e32 v20, 2, v20                              // 0000000045EC: 24282882
	buffer_load_dword v178, v1, s[12:15], 0 idxen              // 0000000045F0: E0502000 8003B201
	buffer_load_dword v179, v2, s[12:15], 0 idxen              // 0000000045F8: E0502000 8003B302
	s_mul_i32 s60, 16, s7                                      // 000000004600: 923C0790
	s_cmp_lt_i32 0, s73                                        // 000000004604: BF044980
	s_cselect_b32 s60, s60, 0                                  // 000000004608: 853C803C
	s_add_u32 s12, s60, s12                                    // 00000000460C: 800C0C3C
	s_addc_u32 s13, 0, s13                                     // 000000004610: 820D0D80
	buffer_load_dword v180, v1, s[12:15], 0 idxen              // 000000004614: E0502000 8003B401
	buffer_load_dword v181, v2, s[12:15], 0 idxen              // 00000000461C: E0502000 8003B502
	s_mul_i32 s60, 16, s7                                      // 000000004624: 923C0790
	s_cmp_lt_i32 0, s73                                        // 000000004628: BF044980
	s_cselect_b32 s60, s60, 0                                  // 00000000462C: 853C803C
	s_add_u32 s12, s60, s12                                    // 000000004630: 800C0C3C
	s_addc_u32 s13, 0, s13                                     // 000000004634: 820D0D80
	buffer_load_dword v182, v1, s[12:15], 0 idxen              // 000000004638: E0502000 8003B601
	buffer_load_dword v183, v2, s[12:15], 0 idxen              // 000000004640: E0502000 8003B702
	s_mul_i32 s60, 16, s7                                      // 000000004648: 923C0790
	s_cmp_lt_i32 0, s73                                        // 00000000464C: BF044980
	s_cselect_b32 s60, s60, 0                                  // 000000004650: 853C803C
	s_add_u32 s12, s60, s12                                    // 000000004654: 800C0C3C
	s_addc_u32 s13, 0, s13                                     // 000000004658: 820D0D80
	buffer_load_dword v184, v1, s[12:15], 0 idxen              // 00000000465C: E0502000 8003B801
	buffer_load_dword v185, v2, s[12:15], 0 idxen              // 000000004664: E0502000 8003B902
	s_mul_i32 s60, 16, s7                                      // 00000000466C: 923C0790
	s_cmp_lt_i32 1, s73                                        // 000000004670: BF044981
	s_cselect_b32 s60, s60, 0                                  // 000000004674: 853C803C
	s_add_u32 s12, s60, s12                                    // 000000004678: 800C0C3C
	s_addc_u32 s13, 0, s13                                     // 00000000467C: 820D0D80
	buffer_load_dword v186, v1, s[12:15], 0 idxen              // 000000004680: E0502000 8003BA01
	buffer_load_dword v187, v2, s[12:15], 0 idxen              // 000000004688: E0502000 8003BB02
	s_mul_i32 s60, 16, s7                                      // 000000004690: 923C0790
	s_cmp_lt_i32 1, s73                                        // 000000004694: BF044981
	s_cselect_b32 s60, s60, 0                                  // 000000004698: 853C803C
	s_add_u32 s12, s60, s12                                    // 00000000469C: 800C0C3C
	s_addc_u32 s13, 0, s13                                     // 0000000046A0: 820D0D80
	buffer_load_dword v188, v1, s[12:15], 0 idxen              // 0000000046A4: E0502000 8003BC01
	buffer_load_dword v189, v2, s[12:15], 0 idxen              // 0000000046AC: E0502000 8003BD02
	s_mul_i32 s60, 16, s7                                      // 0000000046B4: 923C0790
	s_cmp_lt_i32 1, s73                                        // 0000000046B8: BF044981
	s_cselect_b32 s60, s60, 0                                  // 0000000046BC: 853C803C
	s_add_u32 s12, s60, s12                                    // 0000000046C0: 800C0C3C
	s_addc_u32 s13, 0, s13                                     // 0000000046C4: 820D0D80
	buffer_load_dword v190, v1, s[12:15], 0 idxen              // 0000000046C8: E0502000 8003BE01
	buffer_load_dword v191, v2, s[12:15], 0 idxen              // 0000000046D0: E0502000 8003BF02
	s_mul_i32 s60, 16, s7                                      // 0000000046D8: 923C0790
	s_cmp_lt_i32 1, s73                                        // 0000000046DC: BF044981
	s_cselect_b32 s60, s60, 0                                  // 0000000046E0: 853C803C
	s_add_u32 s12, s60, s12                                    // 0000000046E4: 800C0C3C
	s_addc_u32 s13, 0, s13                                     // 0000000046E8: 820D0D80
	buffer_load_dword v192, v1, s[12:15], 0 idxen              // 0000000046EC: E0502000 8003C001
	buffer_load_dword v193, v2, s[12:15], 0 idxen              // 0000000046F4: E0502000 8003C102
	s_mul_i32 s60, 16, s7                                      // 0000000046FC: 923C0790
	s_cmp_lt_i32 2, s73                                        // 000000004700: BF044982
	s_cselect_b32 s60, s60, 0                                  // 000000004704: 853C803C
	s_add_u32 s12, s60, s12                                    // 000000004708: 800C0C3C
	s_addc_u32 s13, 0, s13                                     // 00000000470C: 820D0D80
	buffer_load_dword v194, v1, s[12:15], 0 idxen              // 000000004710: E0502000 8003C201
	buffer_load_dword v195, v2, s[12:15], 0 idxen              // 000000004718: E0502000 8003C302
	s_mul_i32 s60, 16, s7                                      // 000000004720: 923C0790
	s_cmp_lt_i32 2, s73                                        // 000000004724: BF044982
	s_cselect_b32 s60, s60, 0                                  // 000000004728: 853C803C
	s_add_u32 s12, s60, s12                                    // 00000000472C: 800C0C3C
	s_addc_u32 s13, 0, s13                                     // 000000004730: 820D0D80
	buffer_load_dword v196, v1, s[12:15], 0 idxen              // 000000004734: E0502000 8003C401
	buffer_load_dword v197, v2, s[12:15], 0 idxen              // 00000000473C: E0502000 8003C502
	s_mul_i32 s60, 16, s7                                      // 000000004744: 923C0790
	s_cmp_lt_i32 2, s73                                        // 000000004748: BF044982
	s_cselect_b32 s60, s60, 0                                  // 00000000474C: 853C803C
	s_add_u32 s12, s60, s12                                    // 000000004750: 800C0C3C
	s_addc_u32 s13, 0, s13                                     // 000000004754: 820D0D80
	buffer_load_dword v198, v1, s[12:15], 0 idxen              // 000000004758: E0502000 8003C601
	buffer_load_dword v199, v2, s[12:15], 0 idxen              // 000000004760: E0502000 8003C702
	s_mul_i32 s60, 16, s7                                      // 000000004768: 923C0790
	s_cmp_lt_i32 2, s73                                        // 00000000476C: BF044982
	s_cselect_b32 s60, s60, 0                                  // 000000004770: 853C803C
	s_add_u32 s12, s60, s12                                    // 000000004774: 800C0C3C
	s_addc_u32 s13, 0, s13                                     // 000000004778: 820D0D80
	buffer_load_dword v200, v1, s[12:15], 0 idxen              // 00000000477C: E0502000 8003C801
	buffer_load_dword v201, v2, s[12:15], 0 idxen              // 000000004784: E0502000 8003C902
	s_mul_i32 s60, 16, s7                                      // 00000000478C: 923C0790
	s_cmp_lt_i32 3, s73                                        // 000000004790: BF044983
	s_cselect_b32 s60, s60, 0                                  // 000000004794: 853C803C
	s_add_u32 s12, s60, s12                                    // 000000004798: 800C0C3C
	s_addc_u32 s13, 0, s13                                     // 00000000479C: 820D0D80
	s_waitcnt vmcnt(16) lgkmcnt(0)                             // 0000000047A0: BF8C4070
	s_barrier                                                  // 0000000047A4: BF8A0000
	s_cmp_lt_i32 0, s73                                        // 0000000047A8: BF044980
	s_cbranch_scc1 label_0274                                  // 0000000047AC: BF850008
	v_mov_b32_e32 v178, 0                                      // 0000000047B0: 7F640280
	v_mov_b32_e32 v179, 0                                      // 0000000047B4: 7F660280
	v_mov_b32_e32 v180, 0                                      // 0000000047B8: 7F680280
	v_mov_b32_e32 v181, 0                                      // 0000000047BC: 7F6A0280
	v_mov_b32_e32 v182, 0                                      // 0000000047C0: 7F6C0280
	v_mov_b32_e32 v183, 0                                      // 0000000047C4: 7F6E0280
	v_mov_b32_e32 v184, 0                                      // 0000000047C8: 7F700280
	v_mov_b32_e32 v185, 0                                      // 0000000047CC: 7F720280

00000000000047d0 <label_0274>:
	v_perm_b32 v202, v179, v178, s63                           // 0000000047D0: D1ED00CA 00FF65B3
	v_perm_b32 v203, v179, v178, s64                           // 0000000047D8: D1ED00CB 010365B3
	v_perm_b32 v204, v181, v180, s63                           // 0000000047E0: D1ED00CC 00FF69B5
	v_perm_b32 v205, v181, v180, s64                           // 0000000047E8: D1ED00CD 010369B5
	v_perm_b32 v206, v183, v182, s63                           // 0000000047F0: D1ED00CE 00FF6DB7
	v_perm_b32 v207, v183, v182, s64                           // 0000000047F8: D1ED00CF 01036DB7
	v_perm_b32 v208, v185, v184, s63                           // 000000004800: D1ED00D0 00FF71B9
	v_perm_b32 v209, v185, v184, s64                           // 000000004808: D1ED00D1 010371B9
	ds_write_b32 v15, v202 offset:8704                         // 000000004810: D81A2200 0000CA0F
	ds_write_b32 v15, v203 offset:9760                         // 000000004818: D81A2620 0000CB0F
	ds_write_b32 v15, v204 offset:10880                        // 000000004820: D81A2A80 0000CC0F
	ds_write_b32 v15, v205 offset:11936                        // 000000004828: D81A2EA0 0000CD0F
	ds_write_b32 v15, v206 offset:13056                        // 000000004830: D81A3300 0000CE0F
	ds_write_b32 v15, v207 offset:14112                        // 000000004838: D81A3720 0000CF0F
	ds_write_b32 v15, v208 offset:15232                        // 000000004840: D81A3B80 0000D00F
	ds_write_b32 v15, v209 offset:16288                        // 000000004848: D81A3FA0 0000D10F
	ds_write_b32 v13, v178                                     // 000000004850: D81A0000 0000B20D
	ds_write_b32 v13, v179 offset:1056                         // 000000004858: D81A0420 0000B30D
	ds_write_b32 v13, v180 offset:2176                         // 000000004860: D81A0880 0000B40D
	ds_write_b32 v13, v181 offset:3232                         // 000000004868: D81A0CA0 0000B50D
	ds_write_b32 v13, v182 offset:4352                         // 000000004870: D81A1100 0000B60D
	ds_write_b32 v13, v183 offset:5408                         // 000000004878: D81A1520 0000B70D
	ds_write_b32 v13, v184 offset:6528                         // 000000004880: D81A1980 0000B80D
	ds_write_b32 v13, v185 offset:7584                         // 000000004888: D81A1DA0 0000B90D
	buffer_load_dword v178, v1, s[16:19], 0 idxen              // 000000004890: E0502000 8004B201
	buffer_load_dword v179, v2, s[16:19], 0 idxen              // 000000004898: E0502000 8004B302
	s_mul_i32 s60, 16, s7                                      // 0000000048A0: 923C0790
	s_cmp_lt_i32 0, s73                                        // 0000000048A4: BF044980
	s_cselect_b32 s60, s60, 0                                  // 0000000048A8: 853C803C
	s_add_u32 s16, s60, s16                                    // 0000000048AC: 8010103C
	s_addc_u32 s17, 0, s17                                     // 0000000048B0: 82111180
	buffer_load_dword v180, v1, s[16:19], 0 idxen              // 0000000048B4: E0502000 8004B401
	buffer_load_dword v181, v2, s[16:19], 0 idxen              // 0000000048BC: E0502000 8004B502
	s_mul_i32 s60, 16, s7                                      // 0000000048C4: 923C0790
	s_cmp_lt_i32 0, s73                                        // 0000000048C8: BF044980
	s_cselect_b32 s60, s60, 0                                  // 0000000048CC: 853C803C
	s_add_u32 s16, s60, s16                                    // 0000000048D0: 8010103C
	s_addc_u32 s17, 0, s17                                     // 0000000048D4: 82111180
	buffer_load_dword v182, v1, s[16:19], 0 idxen              // 0000000048D8: E0502000 8004B601
	buffer_load_dword v183, v2, s[16:19], 0 idxen              // 0000000048E0: E0502000 8004B702
	s_mul_i32 s60, 16, s7                                      // 0000000048E8: 923C0790
	s_cmp_lt_i32 0, s73                                        // 0000000048EC: BF044980
	s_cselect_b32 s60, s60, 0                                  // 0000000048F0: 853C803C
	s_add_u32 s16, s60, s16                                    // 0000000048F4: 8010103C
	s_addc_u32 s17, 0, s17                                     // 0000000048F8: 82111180
	buffer_load_dword v184, v1, s[16:19], 0 idxen              // 0000000048FC: E0502000 8004B801
	buffer_load_dword v185, v2, s[16:19], 0 idxen              // 000000004904: E0502000 8004B902
	s_mul_i32 s60, 16, s7                                      // 00000000490C: 923C0790
	s_cmp_lt_i32 1, s73                                        // 000000004910: BF044981
	s_cselect_b32 s60, s60, 0                                  // 000000004914: 853C803C
	s_add_u32 s16, s60, s16                                    // 000000004918: 8010103C
	s_addc_u32 s17, 0, s17                                     // 00000000491C: 82111180
	s_waitcnt lgkmcnt(0)                                       // 000000004920: BF8CC07F
	s_barrier                                                  // 000000004924: BF8A0000
	ds_read_b128 a[24:27], v25 offset:8704                     // 000000004928: DBFE2200 18000019
	ds_read_b128 a[28:31], v25 offset:8960                     // 000000004930: DBFE2300 1C000019
	ds_read_b128 a[32:35], v25 offset:13056                    // 000000004938: DBFE3300 20000019
	ds_read_b128 a[36:39], v25 offset:13312                    // 000000004940: DBFE3400 24000019
	ds_read_b128 a[0:3], v24                                   // 000000004948: DBFE0000 00000018
	ds_read_b128 a[4:7], v24 offset:512                        // 000000004950: DBFE0200 04000018
	s_waitcnt vmcnt(16) lgkmcnt(0)                             // 000000004958: BF8C4070
	s_barrier                                                  // 00000000495C: BF8A0000
	s_cmp_lt_i32 1, s73                                        // 000000004960: BF044981
	s_cbranch_scc1 label_02E2                                  // 000000004964: BF850008
	v_mov_b32_e32 v186, 0                                      // 000000004968: 7F740280
	v_mov_b32_e32 v187, 0                                      // 00000000496C: 7F760280
	v_mov_b32_e32 v188, 0                                      // 000000004970: 7F780280
	v_mov_b32_e32 v189, 0                                      // 000000004974: 7F7A0280
	v_mov_b32_e32 v190, 0                                      // 000000004978: 7F7C0280
	v_mov_b32_e32 v191, 0                                      // 00000000497C: 7F7E0280
	v_mov_b32_e32 v192, 0                                      // 000000004980: 7F800280
	v_mov_b32_e32 v193, 0                                      // 000000004984: 7F820280

0000000000004988 <label_02E2>:
	v_perm_b32 v202, v187, v186, s63                           // 000000004988: D1ED00CA 00FF75BB
	v_perm_b32 v203, v187, v186, s64                           // 000000004990: D1ED00CB 010375BB
	v_perm_b32 v204, v189, v188, s63                           // 000000004998: D1ED00CC 00FF79BD
	v_perm_b32 v205, v189, v188, s64                           // 0000000049A0: D1ED00CD 010379BD
	v_perm_b32 v206, v191, v190, s63                           // 0000000049A8: D1ED00CE 00FF7DBF
	v_perm_b32 v207, v191, v190, s64                           // 0000000049B0: D1ED00CF 01037DBF
	v_perm_b32 v208, v193, v192, s63                           // 0000000049B8: D1ED00D0 00FF81C1
	v_perm_b32 v209, v193, v192, s64                           // 0000000049C0: D1ED00D1 010381C1
	ds_write_b32 v15, v202 offset:8704                         // 0000000049C8: D81A2200 0000CA0F
	ds_write_b32 v15, v203 offset:9760                         // 0000000049D0: D81A2620 0000CB0F
	ds_write_b32 v15, v204 offset:10880                        // 0000000049D8: D81A2A80 0000CC0F
	ds_write_b32 v15, v205 offset:11936                        // 0000000049E0: D81A2EA0 0000CD0F
	ds_write_b32 v15, v206 offset:13056                        // 0000000049E8: D81A3300 0000CE0F
	ds_write_b32 v15, v207 offset:14112                        // 0000000049F0: D81A3720 0000CF0F
	ds_write_b32 v15, v208 offset:15232                        // 0000000049F8: D81A3B80 0000D00F
	ds_write_b32 v15, v209 offset:16288                        // 000000004A00: D81A3FA0 0000D10F
	ds_write_b32 v13, v186                                     // 000000004A08: D81A0000 0000BA0D
	ds_write_b32 v13, v187 offset:1056                         // 000000004A10: D81A0420 0000BB0D
	ds_write_b32 v13, v188 offset:2176                         // 000000004A18: D81A0880 0000BC0D
	ds_write_b32 v13, v189 offset:3232                         // 000000004A20: D81A0CA0 0000BD0D
	ds_write_b32 v13, v190 offset:4352                         // 000000004A28: D81A1100 0000BE0D
	ds_write_b32 v13, v191 offset:5408                         // 000000004A30: D81A1520 0000BF0D
	ds_write_b32 v13, v192 offset:6528                         // 000000004A38: D81A1980 0000C00D
	ds_write_b32 v13, v193 offset:7584                         // 000000004A40: D81A1DA0 0000C10D
	buffer_load_dword v186, v1, s[16:19], 0 idxen              // 000000004A48: E0502000 8004BA01
	buffer_load_dword v187, v2, s[16:19], 0 idxen              // 000000004A50: E0502000 8004BB02
	s_mul_i32 s60, 16, s7                                      // 000000004A58: 923C0790
	s_cmp_lt_i32 1, s73                                        // 000000004A5C: BF044981
	s_cselect_b32 s60, s60, 0                                  // 000000004A60: 853C803C
	s_add_u32 s16, s60, s16                                    // 000000004A64: 8010103C
	s_addc_u32 s17, 0, s17                                     // 000000004A68: 82111180
	buffer_load_dword v188, v1, s[16:19], 0 idxen              // 000000004A6C: E0502000 8004BC01
	buffer_load_dword v189, v2, s[16:19], 0 idxen              // 000000004A74: E0502000 8004BD02
	s_mul_i32 s60, 16, s7                                      // 000000004A7C: 923C0790
	s_cmp_lt_i32 1, s73                                        // 000000004A80: BF044981
	s_cselect_b32 s60, s60, 0                                  // 000000004A84: 853C803C
	s_add_u32 s16, s60, s16                                    // 000000004A88: 8010103C
	s_addc_u32 s17, 0, s17                                     // 000000004A8C: 82111180
	buffer_load_dword v190, v1, s[16:19], 0 idxen              // 000000004A90: E0502000 8004BE01
	buffer_load_dword v191, v2, s[16:19], 0 idxen              // 000000004A98: E0502000 8004BF02
	s_mul_i32 s60, 16, s7                                      // 000000004AA0: 923C0790
	s_cmp_lt_i32 1, s73                                        // 000000004AA4: BF044981
	s_cselect_b32 s60, s60, 0                                  // 000000004AA8: 853C803C
	s_add_u32 s16, s60, s16                                    // 000000004AAC: 8010103C
	s_addc_u32 s17, 0, s17                                     // 000000004AB0: 82111180
	buffer_load_dword v192, v1, s[16:19], 0 idxen              // 000000004AB4: E0502000 8004C001
	buffer_load_dword v193, v2, s[16:19], 0 idxen              // 000000004ABC: E0502000 8004C102
	s_mul_i32 s60, 16, s7                                      // 000000004AC4: 923C0790
	s_cmp_lt_i32 2, s73                                        // 000000004AC8: BF044982
	s_cselect_b32 s60, s60, 0                                  // 000000004ACC: 853C803C
	s_add_u32 s16, s60, s16                                    // 000000004AD0: 8010103C
	s_addc_u32 s17, 0, s17                                     // 000000004AD4: 82111180
	s_waitcnt lgkmcnt(0)                                       // 000000004AD8: BF8CC07F
	s_barrier                                                  // 000000004ADC: BF8A0000
	ds_read_b128 a[40:43], v25 offset:8704                     // 000000004AE0: DBFE2200 28000019
	ds_read_b128 a[44:47], v25 offset:8960                     // 000000004AE8: DBFE2300 2C000019
	ds_read_b128 a[48:51], v25 offset:13056                    // 000000004AF0: DBFE3300 30000019
	ds_read_b128 a[52:55], v25 offset:13312                    // 000000004AF8: DBFE3400 34000019
	ds_read_b128 a[8:11], v24                                  // 000000004B00: DBFE0000 08000018
	ds_read_b128 a[12:15], v24 offset:512                      // 000000004B08: DBFE0200 0C000018
	s_waitcnt vmcnt(16) lgkmcnt(0)                             // 000000004B10: BF8C4070
	s_barrier                                                  // 000000004B14: BF8A0000
	s_cmp_lt_i32 2, s73                                        // 000000004B18: BF044982
	s_cbranch_scc1 label_0350                                  // 000000004B1C: BF850008
	v_mov_b32_e32 v194, 0                                      // 000000004B20: 7F840280
	v_mov_b32_e32 v195, 0                                      // 000000004B24: 7F860280
	v_mov_b32_e32 v196, 0                                      // 000000004B28: 7F880280
	v_mov_b32_e32 v197, 0                                      // 000000004B2C: 7F8A0280
	v_mov_b32_e32 v198, 0                                      // 000000004B30: 7F8C0280
	v_mov_b32_e32 v199, 0                                      // 000000004B34: 7F8E0280
	v_mov_b32_e32 v200, 0                                      // 000000004B38: 7F900280
	v_mov_b32_e32 v201, 0                                      // 000000004B3C: 7F920280

0000000000004b40 <label_0350>:
	v_perm_b32 v202, v195, v194, s63                           // 000000004B40: D1ED00CA 00FF85C3
	v_perm_b32 v203, v195, v194, s64                           // 000000004B48: D1ED00CB 010385C3
	v_perm_b32 v204, v197, v196, s63                           // 000000004B50: D1ED00CC 00FF89C5
	v_perm_b32 v205, v197, v196, s64                           // 000000004B58: D1ED00CD 010389C5
	v_perm_b32 v206, v199, v198, s63                           // 000000004B60: D1ED00CE 00FF8DC7
	v_perm_b32 v207, v199, v198, s64                           // 000000004B68: D1ED00CF 01038DC7
	v_perm_b32 v208, v201, v200, s63                           // 000000004B70: D1ED00D0 00FF91C9
	v_perm_b32 v209, v201, v200, s64                           // 000000004B78: D1ED00D1 010391C9
	ds_write_b32 v15, v202 offset:8704                         // 000000004B80: D81A2200 0000CA0F
	ds_write_b32 v15, v203 offset:9760                         // 000000004B88: D81A2620 0000CB0F
	ds_write_b32 v15, v204 offset:10880                        // 000000004B90: D81A2A80 0000CC0F
	ds_write_b32 v15, v205 offset:11936                        // 000000004B98: D81A2EA0 0000CD0F
	ds_write_b32 v15, v206 offset:13056                        // 000000004BA0: D81A3300 0000CE0F
	ds_write_b32 v15, v207 offset:14112                        // 000000004BA8: D81A3720 0000CF0F
	ds_write_b32 v15, v208 offset:15232                        // 000000004BB0: D81A3B80 0000D00F
	ds_write_b32 v15, v209 offset:16288                        // 000000004BB8: D81A3FA0 0000D10F
	ds_write_b32 v13, v194                                     // 000000004BC0: D81A0000 0000C20D
	ds_write_b32 v13, v195 offset:1056                         // 000000004BC8: D81A0420 0000C30D
	ds_write_b32 v13, v196 offset:2176                         // 000000004BD0: D81A0880 0000C40D
	ds_write_b32 v13, v197 offset:3232                         // 000000004BD8: D81A0CA0 0000C50D
	ds_write_b32 v13, v198 offset:4352                         // 000000004BE0: D81A1100 0000C60D
	ds_write_b32 v13, v199 offset:5408                         // 000000004BE8: D81A1520 0000C70D
	ds_write_b32 v13, v200 offset:6528                         // 000000004BF0: D81A1980 0000C80D
	ds_write_b32 v13, v201 offset:7584                         // 000000004BF8: D81A1DA0 0000C90D
	buffer_load_dword v194, v1, s[16:19], 0 idxen              // 000000004C00: E0502000 8004C201
	buffer_load_dword v195, v2, s[16:19], 0 idxen              // 000000004C08: E0502000 8004C302
	s_mul_i32 s60, 16, s7                                      // 000000004C10: 923C0790
	s_cmp_lt_i32 2, s73                                        // 000000004C14: BF044982
	s_cselect_b32 s60, s60, 0                                  // 000000004C18: 853C803C
	s_add_u32 s16, s60, s16                                    // 000000004C1C: 8010103C
	s_addc_u32 s17, 0, s17                                     // 000000004C20: 82111180
	buffer_load_dword v196, v1, s[16:19], 0 idxen              // 000000004C24: E0502000 8004C401
	buffer_load_dword v197, v2, s[16:19], 0 idxen              // 000000004C2C: E0502000 8004C502
	s_mul_i32 s60, 16, s7                                      // 000000004C34: 923C0790
	s_cmp_lt_i32 2, s73                                        // 000000004C38: BF044982
	s_cselect_b32 s60, s60, 0                                  // 000000004C3C: 853C803C
	s_add_u32 s16, s60, s16                                    // 000000004C40: 8010103C
	s_addc_u32 s17, 0, s17                                     // 000000004C44: 82111180
	buffer_load_dword v198, v1, s[16:19], 0 idxen              // 000000004C48: E0502000 8004C601
	buffer_load_dword v199, v2, s[16:19], 0 idxen              // 000000004C50: E0502000 8004C702
	s_mul_i32 s60, 16, s7                                      // 000000004C58: 923C0790
	s_cmp_lt_i32 2, s73                                        // 000000004C5C: BF044982
	s_cselect_b32 s60, s60, 0                                  // 000000004C60: 853C803C
	s_add_u32 s16, s60, s16                                    // 000000004C64: 8010103C
	s_addc_u32 s17, 0, s17                                     // 000000004C68: 82111180
	buffer_load_dword v200, v1, s[16:19], 0 idxen              // 000000004C6C: E0502000 8004C801
	buffer_load_dword v201, v2, s[16:19], 0 idxen              // 000000004C74: E0502000 8004C902
	s_mul_i32 s60, 16, s7                                      // 000000004C7C: 923C0790
	s_cmp_lt_i32 3, s73                                        // 000000004C80: BF044983
	s_cselect_b32 s60, s60, 0                                  // 000000004C84: 853C803C
	s_add_u32 s16, s60, s16                                    // 000000004C88: 8010103C
	s_addc_u32 s17, 0, s17                                     // 000000004C8C: 82111180
	s_waitcnt lgkmcnt(0)                                       // 000000004C90: BF8CC07F
	s_barrier                                                  // 000000004C94: BF8A0000
	ds_read_b128 a[56:59], v25 offset:8704                     // 000000004C98: DBFE2200 38000019
	ds_read_b128 a[60:63], v25 offset:8960                     // 000000004CA0: DBFE2300 3C000019
	ds_read_b128 a[64:67], v25 offset:13056                    // 000000004CA8: DBFE3300 40000019
	ds_read_b128 a[68:71], v25 offset:13312                    // 000000004CB0: DBFE3400 44000019
	ds_read_b128 a[16:19], v24                                 // 000000004CB8: DBFE0000 10000018
	ds_read_b128 a[20:23], v24 offset:512                      // 000000004CC0: DBFE0200 14000018
	s_waitcnt vmcnt(16) lgkmcnt(0)                             // 000000004CC8: BF8C4070
	s_barrier                                                  // 000000004CCC: BF8A0000
	s_cmp_lt_i32 0, s73                                        // 000000004CD0: BF044980
	s_cbranch_scc1 label_03BE                                  // 000000004CD4: BF850008
	v_mov_b32_e32 v178, 0                                      // 000000004CD8: 7F640280
	v_mov_b32_e32 v179, 0                                      // 000000004CDC: 7F660280
	v_mov_b32_e32 v180, 0                                      // 000000004CE0: 7F680280
	v_mov_b32_e32 v181, 0                                      // 000000004CE4: 7F6A0280
	v_mov_b32_e32 v182, 0                                      // 000000004CE8: 7F6C0280
	v_mov_b32_e32 v183, 0                                      // 000000004CEC: 7F6E0280
	v_mov_b32_e32 v184, 0                                      // 000000004CF0: 7F700280
	v_mov_b32_e32 v185, 0                                      // 000000004CF4: 7F720280

0000000000004cf8 <label_03BE>:
	ds_write_b32 v13, v178                                     // 000000004CF8: D81A0000 0000B20D
	ds_write_b32 v13, v179 offset:1056                         // 000000004D00: D81A0420 0000B30D
	ds_write_b32 v13, v180 offset:2176                         // 000000004D08: D81A0880 0000B40D
	ds_write_b32 v13, v181 offset:3232                         // 000000004D10: D81A0CA0 0000B50D
	ds_write_b32 v13, v182 offset:4352                         // 000000004D18: D81A1100 0000B60D
	ds_write_b32 v13, v183 offset:5408                         // 000000004D20: D81A1520 0000B70D
	ds_write_b32 v13, v184 offset:6528                         // 000000004D28: D81A1980 0000B80D
	ds_write_b32 v13, v185 offset:7584                         // 000000004D30: D81A1DA0 0000B90D
	s_mov_b32 s71, s70                                         // 000000004D38: BEC70046
	v_lshrrev_b32_e32 v32, 4, v0                               // 000000004D3C: 20400084
	v_and_b32_e32 v33, 1, v32                                  // 000000004D40: 26424081
	v_lshlrev_b32_e32 v33, 1, v33                              // 000000004D44: 24424281
	v_mul_i32_i24_e32 v33, s71, v33                            // 000000004D48: 0C424247
	v_and_b32_e32 v34, 2, v32                                  // 000000004D4C: 26444082
	v_lshlrev_b32_e32 v34, 5, v34                              // 000000004D50: 24444485
	v_add_u32_e32 v33, v34, v33                                // 000000004D54: 68424322
	v_and_b32_e32 v32, 15, v0                                  // 000000004D58: 2640008F
	v_lshlrev_b32_e32 v32, 2, v32                              // 000000004D5C: 24404082
	v_add_u32_e32 v1, v32, v33                                 // 000000004D60: 68024320
	s_mul_i32 s60, s47, s71                                    // 000000004D64: 923C472F
	s_mul_i32 s60, s60, 4                                      // 000000004D68: 923C843C
	v_add_u32_e32 v1, s60, v1                                  // 000000004D6C: 6802023C
	v_add_u32_e32 v2, s71, v1                                  // 000000004D70: 68040247
	s_mul_i32 s60, 16, s71                                     // 000000004D74: 923C4790
	v_add_u32_e32 v3, s60, v1                                  // 000000004D78: 6806023C
	v_add_u32_e32 v4, s60, v2                                  // 000000004D7C: 6808043C
	v_lshrrev_b32_e32 v1, 2, v1                                // 000000004D80: 20020282
	v_lshrrev_b32_e32 v2, 2, v2                                // 000000004D84: 20040482
	v_lshrrev_b32_e32 v3, 2, v3                                // 000000004D88: 20060682
	v_lshrrev_b32_e32 v4, 2, v4                                // 000000004D8C: 20080882
	buffer_load_dword v36, v1, s[8:11], 0 idxen                // 000000004D90: E0502000 80022401
	buffer_load_dword v37, v2, s[8:11], 0 idxen                // 000000004D98: E0502000 80022502
	buffer_load_dword v38, v3, s[8:11], 0 idxen                // 000000004DA0: E0502000 80022603
	buffer_load_dword v39, v4, s[8:11], 0 idxen                // 000000004DA8: E0502000 80022704
	buffer_load_dword v44, v1, s[20:23], 0 idxen               // 000000004DB0: E0502000 80052C01
	buffer_load_dword v45, v2, s[20:23], 0 idxen               // 000000004DB8: E0502000 80052D02
	buffer_load_dword v46, v3, s[20:23], 0 idxen               // 000000004DC0: E0502000 80052E03
	buffer_load_dword v47, v4, s[20:23], 0 idxen               // 000000004DC8: E0502000 80052F04
	s_waitcnt lgkmcnt(0)                                       // 000000004DD0: BF8CC07F
	s_barrier                                                  // 000000004DD4: BF8A0000
	ds_read_b128 a[72:75], v24                                 // 000000004DD8: DBFE0000 48000018
	ds_read_b128 a[76:79], v24 offset:512                      // 000000004DE0: DBFE0200 4C000018
	s_add_u32 s8, s68, s8                                      // 000000004DE8: 80080844
	s_addc_u32 s9, 0, s9                                       // 000000004DEC: 82090980
	s_add_u32 s20, s68, s20                                    // 000000004DF0: 80141444
	s_addc_u32 s21, 0, s21                                     // 000000004DF4: 82151580
	s_waitcnt vmcnt(16) lgkmcnt(0)                             // 000000004DF8: BF8C4070
	s_barrier                                                  // 000000004DFC: BF8A0000
	s_cmp_lt_i32 1, s73                                        // 000000004E00: BF044981
	s_cbranch_scc1 label_040A                                  // 000000004E04: BF850008
	v_mov_b32_e32 v186, 0                                      // 000000004E08: 7F740280
	v_mov_b32_e32 v187, 0                                      // 000000004E0C: 7F760280
	v_mov_b32_e32 v188, 0                                      // 000000004E10: 7F780280
	v_mov_b32_e32 v189, 0                                      // 000000004E14: 7F7A0280
	v_mov_b32_e32 v190, 0                                      // 000000004E18: 7F7C0280
	v_mov_b32_e32 v191, 0                                      // 000000004E1C: 7F7E0280
	v_mov_b32_e32 v192, 0                                      // 000000004E20: 7F800280
	v_mov_b32_e32 v193, 0                                      // 000000004E24: 7F820280

0000000000004e28 <label_040A>:
	ds_write_b32 v13, v186                                     // 000000004E28: D81A0000 0000BA0D
	ds_write_b32 v13, v187 offset:1056                         // 000000004E30: D81A0420 0000BB0D
	ds_write_b32 v13, v188 offset:2176                         // 000000004E38: D81A0880 0000BC0D
	ds_write_b32 v13, v189 offset:3232                         // 000000004E40: D81A0CA0 0000BD0D
	ds_write_b32 v13, v190 offset:4352                         // 000000004E48: D81A1100 0000BE0D
	ds_write_b32 v13, v191 offset:5408                         // 000000004E50: D81A1520 0000BF0D
	ds_write_b32 v13, v192 offset:6528                         // 000000004E58: D81A1980 0000C00D
	ds_write_b32 v13, v193 offset:7584                         // 000000004E60: D81A1DA0 0000C10D
	buffer_load_dword v40, v1, s[8:11], 0 idxen                // 000000004E68: E0502000 80022801
	buffer_load_dword v41, v2, s[8:11], 0 idxen                // 000000004E70: E0502000 80022902
	buffer_load_dword v42, v3, s[8:11], 0 idxen                // 000000004E78: E0502000 80022A03
	buffer_load_dword v43, v4, s[8:11], 0 idxen                // 000000004E80: E0502000 80022B04
	buffer_load_dword v48, v1, s[20:23], 0 idxen               // 000000004E88: E0502000 80053001
	buffer_load_dword v49, v2, s[20:23], 0 idxen               // 000000004E90: E0502000 80053102
	buffer_load_dword v50, v3, s[20:23], 0 idxen               // 000000004E98: E0502000 80053203
	buffer_load_dword v51, v4, s[20:23], 0 idxen               // 000000004EA0: E0502000 80053304
	s_waitcnt lgkmcnt(0)                                       // 000000004EA8: BF8CC07F
	s_barrier                                                  // 000000004EAC: BF8A0000
	ds_read_b128 a[80:83], v24                                 // 000000004EB0: DBFE0000 50000018
	ds_read_b128 a[84:87], v24 offset:512                      // 000000004EB8: DBFE0200 54000018
	s_add_u32 s60, 64, s59                                     // 000000004EC0: 803C3BC0
	s_cmp_lt_u32 s60, s58                                      // 000000004EC4: BF0A3A3C
	s_cselect_b32 s68, s68, 0                                  // 000000004EC8: 85448044
	s_add_u32 s8, s68, s8                                      // 000000004ECC: 80080844
	s_addc_u32 s9, 0, s9                                       // 000000004ED0: 82090980
	s_add_u32 s20, s68, s20                                    // 000000004ED4: 80141444
	s_addc_u32 s21, 0, s21                                     // 000000004ED8: 82151580
	s_waitcnt vmcnt(16) lgkmcnt(0)                             // 000000004EDC: BF8C4070
	s_barrier                                                  // 000000004EE0: BF8A0000
	s_cmp_lt_i32 2, s73                                        // 000000004EE4: BF044982
	s_cbranch_scc1 label_0443                                  // 000000004EE8: BF850008
	v_mov_b32_e32 v194, 0                                      // 000000004EEC: 7F840280
	v_mov_b32_e32 v195, 0                                      // 000000004EF0: 7F860280
	v_mov_b32_e32 v196, 0                                      // 000000004EF4: 7F880280
	v_mov_b32_e32 v197, 0                                      // 000000004EF8: 7F8A0280
	v_mov_b32_e32 v198, 0                                      // 000000004EFC: 7F8C0280
	v_mov_b32_e32 v199, 0                                      // 000000004F00: 7F8E0280
	v_mov_b32_e32 v200, 0                                      // 000000004F04: 7F900280
	v_mov_b32_e32 v201, 0                                      // 000000004F08: 7F920280

0000000000004f0c <label_0443>:
	ds_write_b32 v13, v194                                     // 000000004F0C: D81A0000 0000C20D
	ds_write_b32 v13, v195 offset:1056                         // 000000004F14: D81A0420 0000C30D
	ds_write_b32 v13, v196 offset:2176                         // 000000004F1C: D81A0880 0000C40D
	ds_write_b32 v13, v197 offset:3232                         // 000000004F24: D81A0CA0 0000C50D
	ds_write_b32 v13, v198 offset:4352                         // 000000004F2C: D81A1100 0000C60D
	ds_write_b32 v13, v199 offset:5408                         // 000000004F34: D81A1520 0000C70D
	ds_write_b32 v13, v200 offset:6528                         // 000000004F3C: D81A1980 0000C80D
	ds_write_b32 v13, v201 offset:7584                         // 000000004F44: D81A1DA0 0000C90D
	s_waitcnt lgkmcnt(0)                                       // 000000004F4C: BF8CC07F
	s_barrier                                                  // 000000004F50: BF8A0000
	ds_read_b128 a[88:91], v24                                 // 000000004F54: DBFE0000 58000018
	ds_read_b128 a[92:95], v24 offset:512                      // 000000004F5C: DBFE0200 5C000018
	s_waitcnt vmcnt(8) lgkmcnt(0)                              // 000000004F64: BF8C0078
	s_barrier                                                  // 000000004F68: BF8A0000
	buffer_load_dword v11, s[24:27], 0 idxen lds               // 000000004F6C: E0512000 8006000B
	s_mov_b32 m0, s75                                          // 000000004F74: BEFC004B
	v_add_u32_e32 v11, s69, v11                                // 000000004F78: 68161645
	v_perm_b32 v100, v37, v36, s63                             // 000000004F7C: D1ED0064 00FE4925
	v_perm_b32 v101, v37, v36, s64                             // 000000004F84: D1ED0065 01024925
	v_perm_b32 v102, v39, v38, s63                             // 000000004F8C: D1ED0066 00FE4D27
	v_perm_b32 v103, v39, v38, s64                             // 000000004F94: D1ED0067 01024D27
	ds_write_b32 v15, v100 offset:4352                         // 000000004F9C: D81A1100 0000640F
	ds_write_b32 v15, v101 offset:5408                         // 000000004FA4: D81A1520 0000650F
	ds_write_b32 v15, v102 offset:6528                         // 000000004FAC: D81A1980 0000660F
	ds_write_b32 v15, v103 offset:7584                         // 000000004FB4: D81A1DA0 0000670F
	ds_write_b32 v13, v36                                      // 000000004FBC: D81A0000 0000240D
	ds_write_b32 v13, v37 offset:1056                          // 000000004FC4: D81A0420 0000250D
	ds_write_b32 v13, v38 offset:2176                          // 000000004FCC: D81A0880 0000260D
	ds_write_b32 v13, v39 offset:3232                          // 000000004FD4: D81A0CA0 0000270D
	buffer_load_dword v11, s[24:27], 0 idxen lds               // 000000004FDC: E0512000 8006000B
	s_add_u32 s60, 64, s59                                     // 000000004FE4: 803C3BC0
	s_cmp_lt_u32 s60, s58                                      // 000000004FE8: BF0A3A3C
	s_cselect_b32 s69, s69, 0                                  // 000000004FEC: 85458045
	s_mov_b32 m0, s74                                          // 000000004FF0: BEFC004A
	v_add_u32_e32 v11, s69, v11                                // 000000004FF4: 68161645
	v_perm_b32 v104, v45, v44, s63                             // 000000004FF8: D1ED0068 00FE592D
	v_perm_b32 v105, v45, v44, s64                             // 000000005000: D1ED0069 0102592D
	v_perm_b32 v106, v47, v46, s63                             // 000000005008: D1ED006A 00FE5D2F
	v_perm_b32 v107, v47, v46, s64                             // 000000005010: D1ED006B 01025D2F
	ds_write_b32 v15, v104 offset:13056                        // 000000005018: D81A3300 0000680F
	ds_write_b32 v15, v105 offset:14112                        // 000000005020: D81A3720 0000690F
	ds_write_b32 v15, v106 offset:15232                        // 000000005028: D81A3B80 00006A0F
	ds_write_b32 v15, v107 offset:16288                        // 000000005030: D81A3FA0 00006B0F
	ds_write_b32 v13, v44 offset:8704                          // 000000005038: D81A2200 00002C0D
	ds_write_b32 v13, v45 offset:9760                          // 000000005040: D81A2620 00002D0D
	ds_write_b32 v13, v46 offset:10880                         // 000000005048: D81A2A80 00002E0D
	ds_write_b32 v13, v47 offset:11936                         // 000000005050: D81A2EA0 00002F0D
	s_waitcnt vmcnt(1) lgkmcnt(0)                              // 000000005058: BF8C0071
	s_barrier                                                  // 00000000505C: BF8A0000
	ds_read_b128 a[96:99], v12                                 // 000000005060: DBFE0000 6000000C
	ds_read_b128 a[100:103], v12 offset:512                    // 000000005068: DBFE0200 6400000C
	ds_read_b128 a[104:107], v12 offset:2176                   // 000000005070: DBFE0880 6800000C
	ds_read_b128 a[108:111], v12 offset:2688                   // 000000005078: DBFE0A80 6C00000C
	ds_read_b128 v[108:111], v12 offset:8704                   // 000000005080: D9FE2200 6C00000C
	ds_read_b128 v[112:115], v12 offset:9216                   // 000000005088: D9FE2400 7000000C
	ds_read_b128 v[116:119], v12 offset:10880                  // 000000005090: D9FE2A80 7400000C
	ds_read_b128 v[120:123], v12 offset:11392                  // 000000005098: D9FE2C80 7800000C
	ds_read_b32 v140, v23 offset:35584                         // 0000000050A0: D86C8B00 8C000017
	ds_read_b32 v144, v23 offset:35648                         // 0000000050A8: D86C8B40 90000017
	ds_read_b32 v176, v23 offset:35840                         // 0000000050B0: D86C8C00 B0000017
	ds_read_b32 v177, v23 offset:35904                         // 0000000050B8: D86C8C40 B1000017
	v_accvgpr_write_b32 a112, 0                                // 0000000050C0: D3D94070 18000080
	v_mov_b32_e32 v178, 0                                      // 0000000050C8: 7F640280
	v_accvgpr_write_b32 a113, 0                                // 0000000050CC: D3D94071 18000080
	v_mov_b32_e32 v179, 0                                      // 0000000050D4: 7F660280
	v_accvgpr_write_b32 a114, 0                                // 0000000050D8: D3D94072 18000080
	v_mov_b32_e32 v180, 0                                      // 0000000050E0: 7F680280
	v_accvgpr_write_b32 a115, 0                                // 0000000050E4: D3D94073 18000080
	v_mov_b32_e32 v181, 0                                      // 0000000050EC: 7F6A0280
	v_accvgpr_write_b32 a116, 0                                // 0000000050F0: D3D94074 18000080
	v_mov_b32_e32 v182, 0                                      // 0000000050F8: 7F6C0280
	v_accvgpr_write_b32 a117, 0                                // 0000000050FC: D3D94075 18000080
	v_mov_b32_e32 v183, 0                                      // 000000005104: 7F6E0280
	v_accvgpr_write_b32 a118, 0                                // 000000005108: D3D94076 18000080
	v_mov_b32_e32 v184, 0                                      // 000000005110: 7F700280
	v_accvgpr_write_b32 a119, 0                                // 000000005114: D3D94077 18000080
	v_mov_b32_e32 v185, 0                                      // 00000000511C: 7F720280
	v_accvgpr_write_b32 a120, 0                                // 000000005120: D3D94078 18000080
	v_mov_b32_e32 v186, 0                                      // 000000005128: 7F740280
	v_accvgpr_write_b32 a121, 0                                // 00000000512C: D3D94079 18000080
	v_mov_b32_e32 v187, 0                                      // 000000005134: 7F760280
	v_accvgpr_write_b32 a122, 0                                // 000000005138: D3D9407A 18000080
	v_mov_b32_e32 v188, 0                                      // 000000005140: 7F780280
	v_accvgpr_write_b32 a123, 0                                // 000000005144: D3D9407B 18000080
	v_mov_b32_e32 v189, 0                                      // 00000000514C: 7F7A0280
	v_accvgpr_write_b32 a124, 0                                // 000000005150: D3D9407C 18000080
	v_mov_b32_e32 v190, 0                                      // 000000005158: 7F7C0280
	v_accvgpr_write_b32 a125, 0                                // 00000000515C: D3D9407D 18000080
	v_mov_b32_e32 v191, 0                                      // 000000005164: 7F7E0280
	v_accvgpr_write_b32 a126, 0                                // 000000005168: D3D9407E 18000080
	v_mov_b32_e32 v192, 0                                      // 000000005170: 7F800280
	v_accvgpr_write_b32 a127, 0                                // 000000005174: D3D9407F 18000080
	v_mov_b32_e32 v193, 0                                      // 00000000517C: 7F820280
	v_accvgpr_write_b32 a128, 0                                // 000000005180: D3D94080 18000080
	v_mov_b32_e32 v194, 0                                      // 000000005188: 7F840280
	v_accvgpr_write_b32 a129, 0                                // 00000000518C: D3D94081 18000080
	v_mov_b32_e32 v195, 0                                      // 000000005194: 7F860280
	v_accvgpr_write_b32 a130, 0                                // 000000005198: D3D94082 18000080
	v_mov_b32_e32 v196, 0                                      // 0000000051A0: 7F880280
	v_accvgpr_write_b32 a131, 0                                // 0000000051A4: D3D94083 18000080
	v_mov_b32_e32 v197, 0                                      // 0000000051AC: 7F8A0280
	v_accvgpr_write_b32 a132, 0                                // 0000000051B0: D3D94084 18000080
	v_mov_b32_e32 v198, 0                                      // 0000000051B8: 7F8C0280
	v_accvgpr_write_b32 a133, 0                                // 0000000051BC: D3D94085 18000080
	v_mov_b32_e32 v199, 0                                      // 0000000051C4: 7F8E0280
	v_accvgpr_write_b32 a134, 0                                // 0000000051C8: D3D94086 18000080
	v_mov_b32_e32 v200, 0                                      // 0000000051D0: 7F900280
	v_accvgpr_write_b32 a135, 0                                // 0000000051D4: D3D94087 18000080
	v_mov_b32_e32 v201, 0                                      // 0000000051DC: 7F920280
	v_accvgpr_write_b32 a136, 0                                // 0000000051E0: D3D94088 18000080
	v_mov_b32_e32 v202, 0                                      // 0000000051E8: 7F940280
	v_accvgpr_write_b32 a137, 0                                // 0000000051EC: D3D94089 18000080
	v_mov_b32_e32 v203, 0                                      // 0000000051F4: 7F960280
	v_accvgpr_write_b32 a138, 0                                // 0000000051F8: D3D9408A 18000080
	v_mov_b32_e32 v204, 0                                      // 000000005200: 7F980280
	v_accvgpr_write_b32 a139, 0                                // 000000005204: D3D9408B 18000080
	v_mov_b32_e32 v205, 0                                      // 00000000520C: 7F9A0280
	v_accvgpr_write_b32 a140, 0                                // 000000005210: D3D9408C 18000080
	v_mov_b32_e32 v206, 0                                      // 000000005218: 7F9C0280
	v_accvgpr_write_b32 a141, 0                                // 00000000521C: D3D9408D 18000080
	v_mov_b32_e32 v207, 0                                      // 000000005224: 7F9E0280
	v_accvgpr_write_b32 a142, 0                                // 000000005228: D3D9408E 18000080
	v_mov_b32_e32 v208, 0                                      // 000000005230: 7FA00280
	v_accvgpr_write_b32 a143, 0                                // 000000005234: D3D9408F 18000080
	v_mov_b32_e32 v209, 0                                      // 00000000523C: 7FA20280
	v_accvgpr_write_b32 a144, 0                                // 000000005240: D3D94090 18000080
	v_mov_b32_e32 v210, 0                                      // 000000005248: 7FA40280
	v_accvgpr_write_b32 a145, 0                                // 00000000524C: D3D94091 18000080
	v_mov_b32_e32 v211, 0                                      // 000000005254: 7FA60280
	v_accvgpr_write_b32 a146, 0                                // 000000005258: D3D94092 18000080
	v_mov_b32_e32 v212, 0                                      // 000000005260: 7FA80280
	v_accvgpr_write_b32 a147, 0                                // 000000005264: D3D94093 18000080
	v_mov_b32_e32 v213, 0                                      // 00000000526C: 7FAA0280
	v_accvgpr_write_b32 a148, 0                                // 000000005270: D3D94094 18000080
	v_mov_b32_e32 v214, 0                                      // 000000005278: 7FAC0280
	v_accvgpr_write_b32 a149, 0                                // 00000000527C: D3D94095 18000080
	v_mov_b32_e32 v215, 0                                      // 000000005284: 7FAE0280
	v_accvgpr_write_b32 a150, 0                                // 000000005288: D3D94096 18000080
	v_mov_b32_e32 v216, 0                                      // 000000005290: 7FB00280
	v_accvgpr_write_b32 a151, 0                                // 000000005294: D3D94097 18000080
	v_mov_b32_e32 v217, 0                                      // 00000000529C: 7FB20280
	v_accvgpr_write_b32 a152, 0                                // 0000000052A0: D3D94098 18000080
	v_mov_b32_e32 v218, 0                                      // 0000000052A8: 7FB40280
	v_accvgpr_write_b32 a153, 0                                // 0000000052AC: D3D94099 18000080
	v_mov_b32_e32 v219, 0                                      // 0000000052B4: 7FB60280
	v_accvgpr_write_b32 a154, 0                                // 0000000052B8: D3D9409A 18000080
	v_mov_b32_e32 v220, 0                                      // 0000000052C0: 7FB80280
	v_accvgpr_write_b32 a155, 0                                // 0000000052C4: D3D9409B 18000080
	v_mov_b32_e32 v221, 0                                      // 0000000052CC: 7FBA0280
	v_accvgpr_write_b32 a156, 0                                // 0000000052D0: D3D9409C 18000080
	v_mov_b32_e32 v222, 0                                      // 0000000052D8: 7FBC0280
	v_accvgpr_write_b32 a157, 0                                // 0000000052DC: D3D9409D 18000080
	v_mov_b32_e32 v223, 0                                      // 0000000052E4: 7FBE0280
	v_accvgpr_write_b32 a158, 0                                // 0000000052E8: D3D9409E 18000080
	v_mov_b32_e32 v224, 0                                      // 0000000052F0: 7FC00280
	v_accvgpr_write_b32 a159, 0                                // 0000000052F4: D3D9409F 18000080
	v_mov_b32_e32 v225, 0                                      // 0000000052FC: 7FC20280
	v_mov_b32_e32 v156, 0                                      // 000000005300: 7F380280
	v_mov_b32_e32 v157, 0                                      // 000000005304: 7F3A0280
	v_mov_b32_e32 v158, 0                                      // 000000005308: 7F3C0280
	v_mov_b32_e32 v159, 0                                      // 00000000530C: 7F3E0280
	v_mov_b32_e32 v160, 0                                      // 000000005310: 7F400280
	v_mov_b32_e32 v161, 0                                      // 000000005314: 7F420280
	v_mov_b32_e32 v162, 0                                      // 000000005318: 7F440280
	v_mov_b32_e32 v163, 0                                      // 00000000531C: 7F460280
	v_mov_b32_e32 v148, 0                                      // 000000005320: 7F280280
	v_mov_b32_e32 v149, 0                                      // 000000005324: 7F2A0280
	v_mov_b32_e32 v150, 0                                      // 000000005328: 7F2C0280
	v_mov_b32_e32 v151, 0                                      // 00000000532C: 7F2E0280
	v_mov_b32_e32 v152, 0                                      // 000000005330: 7F300280
	v_mov_b32_e32 v153, 0                                      // 000000005334: 7F320280
	v_mov_b32_e32 v154, 0                                      // 000000005338: 7F340280
	v_mov_b32_e32 v155, 0                                      // 00000000533C: 7F360280
	s_waitcnt lgkmcnt(0)                                       // 000000005340: BF8CC07F
	s_barrier                                                  // 000000005344: BF8A0000
	buffer_load_dword v36, v1, s[8:11], 0 idxen                // 000000005348: E0502000 80022401
	buffer_load_dword v37, v2, s[8:11], 0 idxen                // 000000005350: E0502000 80022502
	;; [unrolled: 1-line block ×4, first 2 shown]
	buffer_load_dword v44, v1, s[20:23], 0 idxen               // 000000005368: E0502000 80052C01
	buffer_load_dword v45, v2, s[20:23], 0 idxen               // 000000005370: E0502000 80052D02
	buffer_load_dword v46, v3, s[20:23], 0 idxen               // 000000005378: E0502000 80052E03
	buffer_load_dword v47, v4, s[20:23], 0 idxen               // 000000005380: E0502000 80052F04
	buffer_load_dword v11, s[24:27], 0 idxen lds               // 000000005388: E0512000 8006000B
	s_add_u32 s60, 0x60, s59                                   // 000000005390: 803C3BFF 00000060
	s_cmp_lt_u32 s60, s58                                      // 000000005398: BF0A3A3C
	s_cselect_b32 s68, s68, 0                                  // 00000000539C: 85448044
	s_cselect_b32 s69, s69, 0                                  // 0000000053A0: 85458045
	s_mov_b32 m0, s75                                          // 0000000053A4: BEFC004B
	v_add_u32_e32 v11, s69, v11                                // 0000000053A8: 68161645
	s_add_u32 s8, s68, s8                                      // 0000000053AC: 80080844
	s_addc_u32 s9, 0, s9                                       // 0000000053B0: 82090980
	s_add_u32 s20, s68, s20                                    // 0000000053B4: 80141444
	s_addc_u32 s21, 0, s21                                     // 0000000053B8: 82151580
	v_mul_f32_e32 v140, s49, v140                              // 0000000053BC: 0B191831
	v_mul_f32_e32 v144, s49, v144                              // 0000000053C0: 0B212031
	v_perm_b32 v100, v41, v40, s63                             // 0000000053C4: D1ED0064 00FE5129
	v_perm_b32 v101, v41, v40, s64                             // 0000000053CC: D1ED0065 01025129
	v_perm_b32 v102, v43, v42, s63                             // 0000000053D4: D1ED0066 00FE552B
	v_perm_b32 v103, v43, v42, s64                             // 0000000053DC: D1ED0067 0102552B
	v_perm_b32 v104, v49, v48, s63                             // 0000000053E4: D1ED0068 00FE6131
	v_perm_b32 v105, v49, v48, s64                             // 0000000053EC: D1ED0069 01026131
	v_perm_b32 v106, v51, v50, s63                             // 0000000053F4: D1ED006A 00FE6533
	v_perm_b32 v107, v51, v50, s64                             // 0000000053FC: D1ED006B 01026533
	v_mov_b32_dpp v143, v140 quad_perm:[3,3,3,3] row_mask:0xf bank_mask:0xf// 000000005404: 7F1E02FA FF00FF8C
	v_mov_b32_dpp v142, v140 quad_perm:[2,2,2,2] row_mask:0xf bank_mask:0xf// 00000000540C: 7F1C02FA FF00AA8C
	v_mov_b32_dpp v141, v140 quad_perm:[1,1,1,1] row_mask:0xf bank_mask:0xf// 000000005414: 7F1A02FA FF00558C
	v_mov_b32_dpp v140, v140 quad_perm:[0,0,0,0] row_mask:0xf bank_mask:0xf// 00000000541C: 7F1802FA FF00008C
	v_mov_b32_dpp v147, v144 quad_perm:[3,3,3,3] row_mask:0xf bank_mask:0xf// 000000005424: 7F2602FA FF00FF90
	v_mov_b32_dpp v146, v144 quad_perm:[2,2,2,2] row_mask:0xf bank_mask:0xf// 00000000542C: 7F2402FA FF00AA90
	v_mov_b32_dpp v145, v144 quad_perm:[1,1,1,1] row_mask:0xf bank_mask:0xf// 000000005434: 7F2202FA FF005590
	v_mov_b32_dpp v144, v144 quad_perm:[0,0,0,0] row_mask:0xf bank_mask:0xf// 00000000543C: 7F2002FA FF000090
	s_waitcnt vmcnt(9)                                         // 000000005444: BF8C0F79
	s_barrier                                                  // 000000005448: BF8A0000
	s_cmp_lt_i32 s47, 2                                        // 00000000544C: BF04822F
	s_cbranch_scc0 label_0B5A                                  // 000000005450: BF8405C5
	s_nop 0                                                    // 000000005454: BF800000
	s_nop 0                                                    // 000000005458: BF800000
	s_nop 0                                                    // 00000000545C: BF800000

0000000000005460 <label_0598>:
	s_waitcnt lgkmcnt(4)                                       // 000000005460: BF8CC47F
	s_barrier                                                  // 000000005464: BF8A0000
	v_mfma_f32_16x16x16_f16 v[52:55], a[96:97], a[0:1], 0      // 000000005468: D3CD0034 1A020160
	ds_write_b32 v13, v48 offset:8704                          // 000000005470: D81A2200 0000300D
	ds_write_b32 v13, v49 offset:9760                          // 000000005478: D81A2620 0000310D
	v_mfma_f32_16x16x16_f16 v[52:55], a[98:99], a[2:3], v[52:55]// 000000005480: D3CD0034 1CD20562
	v_mul_f32_e32 v148, s48, v148                              // 000000005488: 0B292830
	v_mul_f32_e32 v149, s48, v149                              // 00000000548C: 0B2B2A30
	v_mfma_f32_16x16x16_f16 v[52:55], a[100:101], a[4:5], v[52:55]// 000000005490: D3CD0034 1CD20964
	ds_write_b32 v13, v50 offset:10880                         // 000000005498: D81A2A80 0000320D
	ds_write_b32 v13, v51 offset:11936                         // 0000000054A0: D81A2EA0 0000330D
	v_mfma_f32_16x16x16_f16 v[52:55], a[102:103], a[6:7], v[52:55]// 0000000054A8: D3CD0034 1CD20D66
	v_mul_f32_e32 v150, s48, v150                              // 0000000054B0: 0B2D2C30
	v_mul_f32_e32 v151, s48, v151                              // 0000000054B4: 0B2F2E30
	v_mfma_f32_16x16x16_f16 v[56:59], a[96:97], a[8:9], 0      // 0000000054B8: D3CD0038 1A021160
	v_mul_f32_e32 v152, s48, v152                              // 0000000054C0: 0B313030
	v_mul_f32_e32 v153, s48, v153                              // 0000000054C4: 0B333230
	v_mfma_f32_16x16x16_f16 v[56:59], a[98:99], a[10:11], v[56:59]// 0000000054C8: D3CD0038 1CE21562
	v_mul_f32_e32 v154, s48, v154                              // 0000000054D0: 0B353430
	v_mul_f32_e32 v155, s48, v155                              // 0000000054D4: 0B373630
	v_mfma_f32_16x16x16_f16 v[56:59], a[100:101], a[12:13], v[56:59]// 0000000054D8: D3CD0038 1CE21964
	v_cvt_pkrtz_f16_f32 v148, v148, v149                       // 0000000054E0: D2960094 00032B94
	v_cvt_pkrtz_f16_f32 v149, v150, v151                       // 0000000054E8: D2960095 00032F96
	v_mfma_f32_16x16x16_f16 v[56:59], a[102:103], a[14:15], v[56:59]// 0000000054F0: D3CD0038 1CE21D66
	v_cvt_pkrtz_f16_f32 v150, v152, v153                       // 0000000054F8: D2960096 00033398
	v_cvt_pkrtz_f16_f32 v151, v154, v155                       // 000000005500: D2960097 0003379A
	v_mfma_f32_16x16x16_f16 v[60:63], a[96:97], a[16:17], 0    // 000000005508: D3CD003C 1A022160
	ds_write_b64 v22, v[148:149] offset:31232                  // 000000005510: D89A7A00 00009416
	v_mfma_f32_16x16x16_f16 v[60:63], a[98:99], a[18:19], v[60:63]// 000000005518: D3CD003C 1CF22562
	v_mfma_f32_16x16x16_f16 v[60:63], a[100:101], a[20:21], v[60:63]// 000000005520: D3CD003C 1CF22964
	ds_write_b64 v22, v[150:151] offset:31776                  // 000000005528: D89A7C20 00009616
	v_mfma_f32_16x16x16_f16 v[60:63], a[102:103], a[22:23], v[60:63]// 000000005530: D3CD003C 1CF22D66
	v_mfma_f32_16x16x16_f16 v[64:67], a[104:105], a[0:1], 0    // 000000005538: D3CD0040 1A020168
	ds_read_b128 v[124:127], v14 offset:13056                  // 000000005540: D9FE3300 7C00000E
	ds_write_b32 v13, v40                                      // 000000005548: D81A0000 0000280D
	v_mfma_f32_16x16x16_f16 v[64:67], a[106:107], a[2:3], v[64:67]// 000000005550: D3CD0040 1D02056A
	v_mfma_f32_16x16x16_f16 v[64:67], a[108:109], a[4:5], v[64:67]// 000000005558: D3CD0040 1D02096C
	v_mfma_f32_16x16x16_f16 v[64:67], a[110:111], a[6:7], v[64:67]// 000000005560: D3CD0040 1D020D6E
	ds_read_b128 v[128:131], v14 offset:13568                  // 000000005568: D9FE3500 8000000E
	ds_write_b32 v13, v41 offset:1056                          // 000000005570: D81A0420 0000290D
	v_mfma_f32_16x16x16_f16 v[68:71], a[104:105], a[8:9], 0    // 000000005578: D3CD0044 1A021168
	v_mfma_f32_16x16x16_f16 v[68:71], a[106:107], a[10:11], v[68:71]// 000000005580: D3CD0044 1D12156A
	v_mfma_f32_16x16x16_f16 v[68:71], a[108:109], a[12:13], v[68:71]// 000000005588: D3CD0044 1D12196C
	ds_read_b128 v[132:135], v14 offset:15232                  // 000000005590: D9FE3B80 8400000E
	ds_write_b32 v13, v42 offset:2176                          // 000000005598: D81A0880 00002A0D
	v_mfma_f32_16x16x16_f16 v[68:71], a[110:111], a[14:15], v[68:71]// 0000000055A0: D3CD0044 1D121D6E
	v_mfma_f32_16x16x16_f16 v[72:75], a[104:105], a[16:17], 0  // 0000000055A8: D3CD0048 1A022168
	v_mfma_f32_16x16x16_f16 v[72:75], a[106:107], a[18:19], v[72:75]// 0000000055B0: D3CD0048 1D22256A
	ds_read_b128 v[136:139], v14 offset:15744                  // 0000000055B8: D9FE3D80 8800000E
	ds_write_b32 v13, v43 offset:3232                          // 0000000055C0: D81A0CA0 00002B0D
	v_mfma_f32_16x16x16_f16 v[72:75], a[108:109], a[20:21], v[72:75]// 0000000055C8: D3CD0048 1D22296C
	v_mfma_f32_16x16x16_f16 v[72:75], a[110:111], a[22:23], v[72:75]// 0000000055D0: D3CD0048 1D222D6E
	s_cmp_lt_i32 s73, 3                                        // 0000000055D8: BF048349
	s_cbranch_scc0 label_060F                                  // 0000000055DC: BF840017
	s_cmp_eq_i32 s73, 1                                        // 0000000055E0: BF008149
	s_cbranch_scc1 label_05FD                                  // 0000000055E4: BF850003
	s_cmp_eq_i32 s73, 2                                        // 0000000055E8: BF008249
	s_cbranch_scc1 label_0606                                  // 0000000055EC: BF85000A
	s_branch label_060F                                        // 0000000055F0: BF820012

00000000000055f4 <label_05FD>:
	v_mov_b32_e32 v56, v226                                    // 0000000055F4: 7E7003E2
	v_mov_b32_e32 v68, v226                                    // 0000000055F8: 7E8803E2
	v_mov_b32_e32 v57, v226                                    // 0000000055FC: 7E7203E2
	v_mov_b32_e32 v69, v226                                    // 000000005600: 7E8A03E2
	v_mov_b32_e32 v58, v226                                    // 000000005604: 7E7403E2
	v_mov_b32_e32 v70, v226                                    // 000000005608: 7E8C03E2
	v_mov_b32_e32 v59, v226                                    // 00000000560C: 7E7603E2
	v_mov_b32_e32 v71, v226                                    // 000000005610: 7E8E03E2
	s_branch label_0606                                        // 000000005614: BF820000

0000000000005618 <label_0606>:
	v_mov_b32_e32 v60, v226                                    // 000000005618: 7E7803E2
	v_mov_b32_e32 v72, v226                                    // 00000000561C: 7E9003E2
	v_mov_b32_e32 v61, v226                                    // 000000005620: 7E7A03E2
	v_mov_b32_e32 v73, v226                                    // 000000005624: 7E9203E2
	v_mov_b32_e32 v62, v226                                    // 000000005628: 7E7C03E2
	v_mov_b32_e32 v74, v226                                    // 00000000562C: 7E9403E2
	v_mov_b32_e32 v63, v226                                    // 000000005630: 7E7E03E2
	v_mov_b32_e32 v75, v226                                    // 000000005634: 7E9603E2
	s_branch label_060F                                        // 000000005638: BF820000

000000000000563c <label_060F>:
	s_waitcnt lgkmcnt(8)                                       // 00000000563C: BF8CC87F
	s_barrier                                                  // 000000005640: BF8A0000
	v_mfma_f32_16x16x16_f16 v[76:79], v[108:109], a[72:73], 0  // 000000005644: D3CD004C 1202916C
	ds_read_b128 a[96:99], v14 offset:4352                     // 00000000564C: DBFE1100 6000000E
	ds_read_b128 a[100:103], v14 offset:4864                   // 000000005654: DBFE1300 6400000E
	v_mfma_f32_16x16x16_f16 v[76:79], v[110:111], a[74:75], v[76:79]// 00000000565C: D3CD004C 1532956E
	v_fma_f32 v52, v52, s57, -v140                             // 000000005664: D1CB0034 86307334
	v_fma_f32 v53, v53, s57, -v141                             // 00000000566C: D1CB0035 86347335
	v_fma_f32 v54, v54, s57, -v142                             // 000000005674: D1CB0036 86387336
	v_fma_f32 v55, v55, s57, -v143                             // 00000000567C: D1CB0037 863C7337
	v_fma_f32 v56, v56, s57, -v140                             // 000000005684: D1CB0038 86307338
	v_fma_f32 v57, v57, s57, -v141                             // 00000000568C: D1CB0039 86347339
	v_mfma_f32_16x16x16_f16 v[76:79], v[112:113], a[76:77], v[76:79]// 000000005694: D3CD004C 15329970
	v_fma_f32 v58, v58, s57, -v142                             // 00000000569C: D1CB003A 8638733A
	v_fma_f32 v59, v59, s57, -v143                             // 0000000056A4: D1CB003B 863C733B
	v_fma_f32 v60, v60, s57, -v140                             // 0000000056AC: D1CB003C 8630733C
	v_fma_f32 v61, v61, s57, -v141                             // 0000000056B4: D1CB003D 8634733D
	v_fma_f32 v62, v62, s57, -v142                             // 0000000056BC: D1CB003E 8638733E
	v_fma_f32 v63, v63, s57, -v143                             // 0000000056C4: D1CB003F 863C733F
	v_mfma_f32_16x16x16_f16 v[76:79], v[114:115], a[78:79], v[76:79]// 0000000056CC: D3CD004C 15329D72
	v_fma_f32 v64, v64, s57, -v144                             // 0000000056D4: D1CB0040 86407340
	v_fma_f32 v65, v65, s57, -v145                             // 0000000056DC: D1CB0041 86447341
	v_fma_f32 v66, v66, s57, -v146                             // 0000000056E4: D1CB0042 86487342
	v_fma_f32 v67, v67, s57, -v147                             // 0000000056EC: D1CB0043 864C7343
	v_fma_f32 v68, v68, s57, -v144                             // 0000000056F4: D1CB0044 86407344
	v_fma_f32 v69, v69, s57, -v145                             // 0000000056FC: D1CB0045 86447345
	v_mfma_f32_16x16x16_f16 v[80:83], v[108:109], a[80:81], 0  // 000000005704: D3CD0050 1202A16C
	ds_read_b128 a[104:107], v14 offset:6528                   // 00000000570C: DBFE1980 6800000E
	ds_read_b128 a[108:111], v14 offset:7040                   // 000000005714: DBFE1B80 6C00000E
	v_mfma_f32_16x16x16_f16 v[80:83], v[110:111], a[82:83], v[80:83]// 00000000571C: D3CD0050 1542A56E
	v_fma_f32 v70, v70, s57, -v146                             // 000000005724: D1CB0046 86487346
	v_fma_f32 v71, v71, s57, -v147                             // 00000000572C: D1CB0047 864C7347
	v_fma_f32 v72, v72, s57, -v144                             // 000000005734: D1CB0048 86407348
	v_fma_f32 v73, v73, s57, -v145                             // 00000000573C: D1CB0049 86447349
	v_fma_f32 v74, v74, s57, -v146                             // 000000005744: D1CB004A 8648734A
	v_fma_f32 v75, v75, s57, -v147                             // 00000000574C: D1CB004B 864C734B
	v_mfma_f32_16x16x16_f16 v[80:83], v[112:113], a[84:85], v[80:83]// 000000005754: D3CD0050 1542A970
	v_exp_f32_e32 v52, v52                                     // 00000000575C: 7E684134
	v_exp_f32_e32 v53, v53                                     // 000000005760: 7E6A4135
	v_mfma_f32_16x16x16_f16 v[80:83], v[114:115], a[86:87], v[80:83]// 000000005764: D3CD0050 1542AD72
	v_exp_f32_e32 v54, v54                                     // 00000000576C: 7E6C4136
	v_exp_f32_e32 v55, v55                                     // 000000005770: 7E6E4137
	v_mfma_f32_16x16x16_f16 v[84:87], v[108:109], a[88:89], 0  // 000000005774: D3CD0054 1202B16C
	ds_read_b32 v156, v21 offset:31232                         // 00000000577C: D86C7A00 9C000015
	ds_read_b32 v157, v21 offset:31248                         // 000000005784: D86C7A10 9D000015
	v_mfma_f32_16x16x16_f16 v[84:87], v[110:111], a[90:91], v[84:87]// 00000000578C: D3CD0054 1552B56E
	v_exp_f32_e32 v56, v56                                     // 000000005794: 7E704138
	v_exp_f32_e32 v57, v57                                     // 000000005798: 7E724139
	v_mfma_f32_16x16x16_f16 v[84:87], v[112:113], a[92:93], v[84:87]// 00000000579C: D3CD0054 1552B970
	ds_read_b32 v158, v21 offset:31264                         // 0000000057A4: D86C7A20 9E000015
	ds_read_b32 v159, v21 offset:31280                         // 0000000057AC: D86C7A30 9F000015
	v_mfma_f32_16x16x16_f16 v[84:87], v[114:115], a[94:95], v[84:87]// 0000000057B4: D3CD0054 1552BD72
	v_exp_f32_e32 v58, v58                                     // 0000000057BC: 7E74413A
	v_exp_f32_e32 v59, v59                                     // 0000000057C0: 7E76413B
	v_mfma_f32_16x16x16_f16 v[88:91], v[116:117], a[72:73], 0  // 0000000057C4: D3CD0058 12029174
	v_exp_f32_e32 v60, v60                                     // 0000000057CC: 7E78413C
	v_exp_f32_e32 v61, v61                                     // 0000000057D0: 7E7A413D
	v_mfma_f32_16x16x16_f16 v[88:91], v[118:119], a[74:75], v[88:91]// 0000000057D4: D3CD0058 15629576
	v_exp_f32_e32 v62, v62                                     // 0000000057DC: 7E7C413E
	v_exp_f32_e32 v63, v63                                     // 0000000057E0: 7E7E413F
	v_mfma_f32_16x16x16_f16 v[88:91], v[120:121], a[76:77], v[88:91]// 0000000057E4: D3CD0058 15629978
	v_exp_f32_e32 v64, v64                                     // 0000000057EC: 7E804140
	v_exp_f32_e32 v65, v65                                     // 0000000057F0: 7E824141
	v_mfma_f32_16x16x16_f16 v[88:91], v[122:123], a[78:79], v[88:91]// 0000000057F4: D3CD0058 15629D7A
	v_exp_f32_e32 v66, v66                                     // 0000000057FC: 7E844142
	v_exp_f32_e32 v67, v67                                     // 000000005800: 7E864143
	v_mfma_f32_16x16x16_f16 v[92:95], v[116:117], a[80:81], 0  // 000000005804: D3CD005C 1202A174
	v_exp_f32_e32 v68, v68                                     // 00000000580C: 7E884144
	v_exp_f32_e32 v69, v69                                     // 000000005810: 7E8A4145
	v_mfma_f32_16x16x16_f16 v[92:95], v[118:119], a[82:83], v[92:95]// 000000005814: D3CD005C 1572A576
	v_exp_f32_e32 v70, v70                                     // 00000000581C: 7E8C4146
	v_exp_f32_e32 v71, v71                                     // 000000005820: 7E8E4147
	v_mfma_f32_16x16x16_f16 v[92:95], v[120:121], a[84:85], v[92:95]// 000000005824: D3CD005C 1572A978
	v_exp_f32_e32 v72, v72                                     // 00000000582C: 7E904148
	v_exp_f32_e32 v73, v73                                     // 000000005830: 7E924149
	v_mfma_f32_16x16x16_f16 v[92:95], v[122:123], a[86:87], v[92:95]// 000000005834: D3CD005C 1572AD7A
	v_exp_f32_e32 v74, v74                                     // 00000000583C: 7E94414A
	v_exp_f32_e32 v75, v75                                     // 000000005840: 7E96414B
	v_mfma_f32_16x16x16_f16 v[96:99], v[116:117], a[88:89], 0  // 000000005844: D3CD0060 1202B174
	v_cvt_pkrtz_f16_f32 v164, v52, v53                         // 00000000584C: D29600A4 00026B34
	v_cvt_pkrtz_f16_f32 v165, v54, v55                         // 000000005854: D29600A5 00026F36
	v_cvt_pkrtz_f16_f32 v166, v56, v57                         // 00000000585C: D29600A6 00027338
	v_cvt_pkrtz_f16_f32 v167, v58, v59                         // 000000005864: D29600A7 0002773A
	v_cvt_pkrtz_f16_f32 v168, v60, v61                         // 00000000586C: D29600A8 00027B3C
	v_cvt_pkrtz_f16_f32 v169, v62, v63                         // 000000005874: D29600A9 00027F3E
	v_mfma_f32_16x16x16_f16 v[96:99], v[118:119], a[90:91], v[96:99]// 00000000587C: D3CD0060 1582B576
	v_cvt_pkrtz_f16_f32 v170, v64, v65                         // 000000005884: D29600AA 00028340
	v_cvt_pkrtz_f16_f32 v171, v66, v67                         // 00000000588C: D29600AB 00028742
	v_cvt_pkrtz_f16_f32 v172, v68, v69                         // 000000005894: D29600AC 00028B44
	v_cvt_pkrtz_f16_f32 v173, v70, v71                         // 00000000589C: D29600AD 00028F46
	v_cvt_pkrtz_f16_f32 v174, v72, v73                         // 0000000058A4: D29600AE 00029348
	v_cvt_pkrtz_f16_f32 v175, v74, v75                         // 0000000058AC: D29600AF 0002974A
	v_mfma_f32_16x16x16_f16 v[96:99], v[120:121], a[92:93], v[96:99]// 0000000058B4: D3CD0060 1582B978
	s_add_u32 s32, s66, s32                                    // 0000000058BC: 80202042
	s_addc_u32 s33, 0, s33                                     // 0000000058C0: 82212180
	v_mfma_f32_16x16x16_f16 v[96:99], v[122:123], a[94:95], v[96:99]// 0000000058C4: D3CD0060 1582BD7A
	s_waitcnt lgkmcnt(0)                                       // 0000000058CC: BF8CC07F
	s_barrier                                                  // 0000000058D0: BF8A0000
	v_mfma_f32_16x16x16_f16 v[178:181], v[124:125], v[164:165], v[178:181]// 0000000058D4: D3CD00B2 06CB497C
	v_subrev_f32_dpp v76, v176, v76 quad_perm:[0,0,0,0] row_mask:0xf bank_mask:0xf// 0000000058DC: 069898FA FF0000B0
	v_subrev_f32_dpp v77, v176, v77 quad_perm:[1,1,1,1] row_mask:0xf bank_mask:0xf// 0000000058E4: 069A9AFA FF0055B0
	v_subrev_f32_dpp v78, v176, v78 quad_perm:[2,2,2,2] row_mask:0xf bank_mask:0xf// 0000000058EC: 069C9CFA FF00AAB0
	v_subrev_f32_dpp v79, v176, v79 quad_perm:[3,3,3,3] row_mask:0xf bank_mask:0xf// 0000000058F4: 069E9EFA FF00FFB0
	v_subrev_f32_dpp v80, v176, v80 quad_perm:[0,0,0,0] row_mask:0xf bank_mask:0xf// 0000000058FC: 06A0A0FA FF0000B0
	v_subrev_f32_dpp v81, v176, v81 quad_perm:[1,1,1,1] row_mask:0xf bank_mask:0xf// 000000005904: 06A2A2FA FF0055B0
	v_mfma_f32_16x16x16_f16 v[182:185], v[126:127], v[164:165], v[182:185]// 00000000590C: D3CD00B6 06DB497E
	v_subrev_f32_dpp v82, v176, v82 quad_perm:[2,2,2,2] row_mask:0xf bank_mask:0xf// 000000005914: 06A4A4FA FF00AAB0
	v_subrev_f32_dpp v83, v176, v83 quad_perm:[3,3,3,3] row_mask:0xf bank_mask:0xf// 00000000591C: 06A6A6FA FF00FFB0
	v_subrev_f32_dpp v84, v176, v84 quad_perm:[0,0,0,0] row_mask:0xf bank_mask:0xf// 000000005924: 06A8A8FA FF0000B0
	v_subrev_f32_dpp v85, v176, v85 quad_perm:[1,1,1,1] row_mask:0xf bank_mask:0xf// 00000000592C: 06AAAAFA FF0055B0
	v_subrev_f32_dpp v86, v176, v86 quad_perm:[2,2,2,2] row_mask:0xf bank_mask:0xf// 000000005934: 06ACACFA FF00AAB0
	v_subrev_f32_dpp v87, v176, v87 quad_perm:[3,3,3,3] row_mask:0xf bank_mask:0xf// 00000000593C: 06AEAEFA FF00FFB0
	v_mfma_f32_16x16x16_f16 v[186:189], v[128:129], v[164:165], v[186:189]// 000000005944: D3CD00BA 06EB4980
	v_mul_f32_e32 v76, v52, v76                                // 00000000594C: 0A989934
	v_mul_f32_e32 v77, v53, v77                                // 000000005950: 0A9A9B35
	v_mul_f32_e32 v78, v54, v78                                // 000000005954: 0A9C9D36
	v_mul_f32_e32 v79, v55, v79                                // 000000005958: 0A9E9F37
	v_mul_f32_e32 v80, v56, v80                                // 00000000595C: 0AA0A138
	v_mul_f32_e32 v81, v57, v81                                // 000000005960: 0AA2A339
	v_mfma_f32_16x16x16_f16 v[190:193], v[130:131], v[164:165], v[190:193]// 000000005964: D3CD00BE 06FB4982
	v_mul_f32_e32 v82, v58, v82                                // 00000000596C: 0AA4A53A
	v_mul_f32_e32 v83, v59, v83                                // 000000005970: 0AA6A73B
	v_mul_f32_e32 v84, v60, v84                                // 000000005974: 0AA8A93C
	v_mul_f32_e32 v85, v61, v85                                // 000000005978: 0AAAAB3D
	v_mul_f32_e32 v86, v62, v86                                // 00000000597C: 0AACAD3E
	v_mul_f32_e32 v87, v63, v87                                // 000000005980: 0AAEAF3F
	v_mfma_f32_16x16x16_f16 v[194:197], v[124:125], v[166:167], v[194:197]// 000000005984: D3CD00C2 070B4D7C
	v_cvt_pkrtz_f16_f32 v76, v76, v77                          // 00000000598C: D296004C 00029B4C
	v_cvt_pkrtz_f16_f32 v77, v78, v79                          // 000000005994: D296004D 00029F4E
	v_cvt_pkrtz_f16_f32 v78, v80, v81                          // 00000000599C: D296004E 0002A350
	v_cvt_pkrtz_f16_f32 v79, v82, v83                          // 0000000059A4: D296004F 0002A752
	v_cvt_pkrtz_f16_f32 v80, v84, v85                          // 0000000059AC: D2960050 0002AB54
	v_cvt_pkrtz_f16_f32 v81, v86, v87                          // 0000000059B4: D2960051 0002AF56
	v_mfma_f32_16x16x16_f16 v[198:201], v[126:127], v[166:167], v[198:201]// 0000000059BC: D3CD00C6 071B4D7E
	v_mov_b32_dpp v18, v76 quad_perm:[1,0,3,2] row_mask:0xf bank_mask:0xf// 0000000059C4: 7E2402FA FF00B14C
	v_perm_b32 v52, v18, v76, v17                              // 0000000059CC: D1ED0034 04469912
	v_mov_b32_dpp v18, v77 quad_perm:[1,0,3,2] row_mask:0xf bank_mask:0xf// 0000000059D4: 7E2402FA FF00B14D
	v_perm_b32 v53, v18, v77, v17                              // 0000000059DC: D1ED0035 04469B12
	v_mov_b32_dpp v18, v78 quad_perm:[1,0,3,2] row_mask:0xf bank_mask:0xf// 0000000059E4: 7E2402FA FF00B14E
	v_perm_b32 v54, v18, v78, v17                              // 0000000059EC: D1ED0036 04469D12
	v_mfma_f32_16x16x16_f16 v[202:205], v[128:129], v[166:167], v[202:205]// 0000000059F4: D3CD00CA 072B4D80
	v_mov_b32_dpp v18, v79 quad_perm:[1,0,3,2] row_mask:0xf bank_mask:0xf// 0000000059FC: 7E2402FA FF00B14F
	v_perm_b32 v55, v18, v79, v17                              // 000000005A04: D1ED0037 04469F12
	v_mov_b32_dpp v18, v80 quad_perm:[1,0,3,2] row_mask:0xf bank_mask:0xf// 000000005A0C: 7E2402FA FF00B150
	v_perm_b32 v56, v18, v80, v17                              // 000000005A14: D1ED0038 0446A112
	v_mov_b32_dpp v18, v81 quad_perm:[1,0,3,2] row_mask:0xf bank_mask:0xf// 000000005A1C: 7E2402FA FF00B151
	v_perm_b32 v57, v18, v81, v17                              // 000000005A24: D1ED0039 0446A312
	v_mfma_f32_16x16x16_f16 v[206:209], v[130:131], v[166:167], v[206:209]// 000000005A2C: D3CD00CE 073B4D82
	ds_write_b32 v20, v52 offset:17408                         // 000000005A34: D81A4400 00003414
	ds_write_b32 v20, v53 offset:17952                         // 000000005A3C: D81A4620 00003514
	v_mfma_f32_16x16x16_f16 v[210:213], v[124:125], v[168:169], v[210:213]// 000000005A44: D3CD00D2 074B517C
	v_subrev_f32_dpp v88, v177, v88 quad_perm:[0,0,0,0] row_mask:0xf bank_mask:0xf// 000000005A4C: 06B0B0FA FF0000B1
	v_subrev_f32_dpp v89, v177, v89 quad_perm:[1,1,1,1] row_mask:0xf bank_mask:0xf// 000000005A54: 06B2B2FA FF0055B1
	v_subrev_f32_dpp v90, v177, v90 quad_perm:[2,2,2,2] row_mask:0xf bank_mask:0xf// 000000005A5C: 06B4B4FA FF00AAB1
	v_subrev_f32_dpp v91, v177, v91 quad_perm:[3,3,3,3] row_mask:0xf bank_mask:0xf// 000000005A64: 06B6B6FA FF00FFB1
	v_subrev_f32_dpp v92, v177, v92 quad_perm:[0,0,0,0] row_mask:0xf bank_mask:0xf// 000000005A6C: 06B8B8FA FF0000B1
	v_subrev_f32_dpp v93, v177, v93 quad_perm:[1,1,1,1] row_mask:0xf bank_mask:0xf// 000000005A74: 06BABAFA FF0055B1
	v_mfma_f32_16x16x16_f16 v[214:217], v[126:127], v[168:169], v[214:217]// 000000005A7C: D3CD00D6 075B517E
	ds_write_b32 v20, v54 offset:19712                         // 000000005A84: D81A4D00 00003614
	ds_write_b32 v20, v55 offset:20256                         // 000000005A8C: D81A4F20 00003714
	v_mfma_f32_16x16x16_f16 v[218:221], v[128:129], v[168:169], v[218:221]// 000000005A94: D3CD00DA 076B5180
	v_subrev_f32_dpp v94, v177, v94 quad_perm:[2,2,2,2] row_mask:0xf bank_mask:0xf// 000000005A9C: 06BCBCFA FF00AAB1
	v_subrev_f32_dpp v95, v177, v95 quad_perm:[3,3,3,3] row_mask:0xf bank_mask:0xf// 000000005AA4: 06BEBEFA FF00FFB1
	v_subrev_f32_dpp v96, v177, v96 quad_perm:[0,0,0,0] row_mask:0xf bank_mask:0xf// 000000005AAC: 06C0C0FA FF0000B1
	v_subrev_f32_dpp v97, v177, v97 quad_perm:[1,1,1,1] row_mask:0xf bank_mask:0xf// 000000005AB4: 06C2C2FA FF0055B1
	v_subrev_f32_dpp v98, v177, v98 quad_perm:[2,2,2,2] row_mask:0xf bank_mask:0xf// 000000005ABC: 06C4C4FA FF00AAB1
	v_subrev_f32_dpp v99, v177, v99 quad_perm:[3,3,3,3] row_mask:0xf bank_mask:0xf// 000000005AC4: 06C6C6FA FF00FFB1
	v_mfma_f32_16x16x16_f16 v[222:225], v[130:131], v[168:169], v[222:225]// 000000005ACC: D3CD00DE 077B5182
	ds_write_b32 v20, v56 offset:22016                         // 000000005AD4: D81A5600 00003814
	ds_write_b32 v20, v57 offset:22560                         // 000000005ADC: D81A5820 00003914
	v_mfma_f32_16x16x16_f16 v[178:181], v[132:133], v[170:171], v[178:181]// 000000005AE4: D3CD00B2 06CB5584
	v_mul_f32_e32 v88, v64, v88                                // 000000005AEC: 0AB0B140
	v_mul_f32_e32 v89, v65, v89                                // 000000005AF0: 0AB2B341
	v_mul_f32_e32 v90, v66, v90                                // 000000005AF4: 0AB4B542
	v_mul_f32_e32 v91, v67, v91                                // 000000005AF8: 0AB6B743
	v_mul_f32_e32 v92, v68, v92                                // 000000005AFC: 0AB8B944
	v_mul_f32_e32 v93, v69, v93                                // 000000005B00: 0ABABB45
	v_mfma_f32_16x16x16_f16 v[182:185], v[134:135], v[170:171], v[182:185]// 000000005B04: D3CD00B6 06DB5586
	v_mul_f32_e32 v94, v70, v94                                // 000000005B0C: 0ABCBD46
	v_mul_f32_e32 v95, v71, v95                                // 000000005B10: 0ABEBF47
	v_mul_f32_e32 v96, v72, v96                                // 000000005B14: 0AC0C148
	v_mul_f32_e32 v97, v73, v97                                // 000000005B18: 0AC2C349
	v_mul_f32_e32 v98, v74, v98                                // 000000005B1C: 0AC4C54A
	v_mul_f32_e32 v99, v75, v99                                // 000000005B20: 0AC6C74B
	v_mfma_f32_16x16x16_f16 v[186:189], v[136:137], v[170:171], v[186:189]// 000000005B24: D3CD00BA 06EB5588
	v_cvt_pkrtz_f16_f32 v82, v88, v89                          // 000000005B2C: D2960052 0002B358
	v_cvt_pkrtz_f16_f32 v83, v90, v91                          // 000000005B34: D2960053 0002B75A
	v_cvt_pkrtz_f16_f32 v84, v92, v93                          // 000000005B3C: D2960054 0002BB5C
	v_cvt_pkrtz_f16_f32 v85, v94, v95                          // 000000005B44: D2960055 0002BF5E
	v_cvt_pkrtz_f16_f32 v86, v96, v97                          // 000000005B4C: D2960056 0002C360
	v_cvt_pkrtz_f16_f32 v87, v98, v99                          // 000000005B54: D2960057 0002C762
	v_mfma_f32_16x16x16_f16 v[190:193], v[138:139], v[170:171], v[190:193]// 000000005B5C: D3CD00BE 06FB558A
	v_mov_b32_dpp v18, v82 quad_perm:[1,0,3,2] row_mask:0xf bank_mask:0xf// 000000005B64: 7E2402FA FF00B152
	v_perm_b32 v58, v18, v82, v17                              // 000000005B6C: D1ED003A 0446A512
	v_mov_b32_dpp v18, v83 quad_perm:[1,0,3,2] row_mask:0xf bank_mask:0xf// 000000005B74: 7E2402FA FF00B153
	v_perm_b32 v59, v18, v83, v17                              // 000000005B7C: D1ED003B 0446A712
	v_mov_b32_dpp v18, v84 quad_perm:[1,0,3,2] row_mask:0xf bank_mask:0xf// 000000005B84: 7E2402FA FF00B154
	v_perm_b32 v60, v18, v84, v17                              // 000000005B8C: D1ED003C 0446A912
	v_mfma_f32_16x16x16_f16 v[194:197], v[132:133], v[172:173], v[194:197]// 000000005B94: D3CD00C2 070B5984
	v_mov_b32_dpp v18, v85 quad_perm:[1,0,3,2] row_mask:0xf bank_mask:0xf// 000000005B9C: 7E2402FA FF00B155
	v_perm_b32 v61, v18, v85, v17                              // 000000005BA4: D1ED003D 0446AB12
	v_mov_b32_dpp v18, v86 quad_perm:[1,0,3,2] row_mask:0xf bank_mask:0xf// 000000005BAC: 7E2402FA FF00B156
	v_perm_b32 v62, v18, v86, v17                              // 000000005BB4: D1ED003E 0446AD12
	v_mov_b32_dpp v18, v87 quad_perm:[1,0,3,2] row_mask:0xf bank_mask:0xf// 000000005BBC: 7E2402FA FF00B157
	v_perm_b32 v63, v18, v87, v17                              // 000000005BC4: D1ED003F 0446AF12
	v_mfma_f32_16x16x16_f16 v[198:201], v[134:135], v[172:173], v[198:201]// 000000005BCC: D3CD00C6 071B5986
	ds_write_b32 v20, v58 offset:24320                         // 000000005BD4: D81A5F00 00003A14
	ds_write_b32 v20, v59 offset:24864                         // 000000005BDC: D81A6120 00003B14
	v_mfma_f32_16x16x16_f16 v[202:205], v[136:137], v[172:173], v[202:205]// 000000005BE4: D3CD00CA 072B5988
	v_mfma_f32_16x16x16_f16 v[206:209], v[138:139], v[172:173], v[206:209]// 000000005BEC: D3CD00CE 073B598A
	ds_write_b32 v20, v60 offset:26624                         // 000000005BF4: D81A6800 00003C14
	ds_write_b32 v20, v61 offset:27168                         // 000000005BFC: D81A6A20 00003D14
	ds_write_b32 v20, v62 offset:28928                         // 000000005C04: D81A7100 00003E14
	ds_write_b32 v20, v63 offset:29472                         // 000000005C0C: D81A7320 00003F14
	v_mfma_f32_16x16x16_f16 v[210:213], v[132:133], v[174:175], v[210:213]// 000000005C14: D3CD00D2 074B5D84
	v_mfma_f32_16x16x16_f16 v[214:217], v[134:135], v[174:175], v[214:217]// 000000005C1C: D3CD00D6 075B5D86
	ds_write_b32 v15, v100 offset:4352                         // 000000005C24: D81A1100 0000640F
	ds_write_b32 v15, v101 offset:5408                         // 000000005C2C: D81A1520 0000650F
	v_mfma_f32_16x16x16_f16 v[218:221], v[136:137], v[174:175], v[218:221]// 000000005C34: D3CD00DA 076B5D88
	s_nop 0                                                    // 000000005C3C: BF800000
	s_nop 0                                                    // 000000005C40: BF800000
	s_nop 0                                                    // 000000005C44: BF800000
	v_mfma_f32_16x16x16_f16 v[222:225], v[138:139], v[174:175], v[222:225]// 000000005C48: D3CD00DE 077B5D8A
	ds_write_b32 v15, v102 offset:6528                         // 000000005C50: D81A1980 0000660F
	ds_write_b32 v15, v103 offset:7584                         // 000000005C58: D81A1DA0 0000670F
	s_barrier                                                  // 000000005C60: BF8A0000
	v_mfma_f32_16x16x16_f16 a[112:115], a[96:97], v[76:77], a[112:115]// 000000005C64: D3CD8070 0DC29960
	buffer_atomic_pk_add_f16 v156, v7, s[32:35], 0 idxen       // 000000005C6C: E1382000 80089C07
	v_mfma_f32_16x16x16_f16 a[116:119], a[98:99], v[76:77], a[116:119]// 000000005C74: D3CD8074 0DD29962
	ds_read_b32 v140, v23 offset:36096                         // 000000005C7C: D86C8D00 8C000017
	ds_read_b32 v144, v23 offset:36160                         // 000000005C84: D86C8D40 90000017
	ds_read_b32 v176, v23 offset:36352                         // 000000005C8C: D86C8E00 B0000017
	ds_read_b32 v177, v23 offset:36416                         // 000000005C94: D86C8E40 B1000017
	v_mfma_f32_16x16x16_f16 a[120:123], a[100:101], v[76:77], a[120:123]// 000000005C9C: D3CD8078 0DE29964
	s_waitcnt lgkmcnt(8)                                       // 000000005CA4: BF8CC87F
	s_barrier                                                  // 000000005CA8: BF8A0000
	v_mfma_f32_16x16x16_f16 a[124:127], a[102:103], v[76:77], a[124:127]// 000000005CAC: D3CD807C 0DF29966
	ds_read_b128 v[52:55], v19 offset:17408                    // 000000005CB4: D9FE4400 34000013
	v_mfma_f32_16x16x16_f16 a[128:131], a[96:97], v[78:79], a[128:131]// 000000005CBC: D3CD8080 0E029D60
	v_mfma_f32_16x16x16_f16 a[132:135], a[98:99], v[78:79], a[132:135]// 000000005CC4: D3CD8084 0E129D62
	ds_read_b128 v[56:59], v19 offset:18560                    // 000000005CCC: D9FE4880 38000013
	v_mfma_f32_16x16x16_f16 a[136:139], a[100:101], v[78:79], a[136:139]// 000000005CD4: D3CD8088 0E229D64
	buffer_atomic_pk_add_f16 v157, v8, s[32:35], 0 idxen       // 000000005CDC: E1382000 80089D08
	v_mfma_f32_16x16x16_f16 a[140:143], a[102:103], v[78:79], a[140:143]// 000000005CE4: D3CD808C 0E329D66
	ds_read_b128 v[60:63], v19 offset:19712                    // 000000005CEC: D9FE4D00 3C000013
	v_mfma_f32_16x16x16_f16 a[144:147], a[96:97], v[80:81], a[144:147]// 000000005CF4: D3CD8090 0E42A160
	v_mfma_f32_16x16x16_f16 a[148:151], a[98:99], v[80:81], a[148:151]// 000000005CFC: D3CD8094 0E52A162
	ds_read_b128 v[64:67], v19 offset:20864                    // 000000005D04: D9FE5180 40000013
	v_mfma_f32_16x16x16_f16 a[152:155], a[100:101], v[80:81], a[152:155]// 000000005D0C: D3CD8098 0E62A164
	v_mfma_f32_16x16x16_f16 a[156:159], a[102:103], v[80:81], a[156:159]// 000000005D14: D3CD809C 0E72A166
	ds_read_b128 v[68:71], v19 offset:22016                    // 000000005D1C: D9FE5600 44000013
	v_mfma_f32_16x16x16_f16 a[112:115], a[104:105], v[82:83], a[112:115]// 000000005D24: D3CD8070 0DC2A568
	buffer_atomic_pk_add_f16 v158, v9, s[32:35], 0 idxen       // 000000005D2C: E1382000 80089E09
	v_mfma_f32_16x16x16_f16 a[116:119], a[106:107], v[82:83], a[116:119]// 000000005D34: D3CD8074 0DD2A56A
	ds_read_b128 v[72:75], v19 offset:23168                    // 000000005D3C: D9FE5A80 48000013
	v_mfma_f32_16x16x16_f16 a[120:123], a[108:109], v[82:83], a[120:123]// 000000005D44: D3CD8078 0DE2A56C
	v_mfma_f32_16x16x16_f16 a[124:127], a[110:111], v[82:83], a[124:127]// 000000005D4C: D3CD807C 0DF2A56E
	ds_write_b32 v15, v104 offset:13056                        // 000000005D54: D81A3300 0000680F
	v_mfma_f32_16x16x16_f16 a[128:131], a[104:105], v[84:85], a[128:131]// 000000005D5C: D3CD8080 0E02A968
	v_mfma_f32_16x16x16_f16 a[132:135], a[106:107], v[84:85], a[132:135]// 000000005D64: D3CD8084 0E12A96A
	ds_write_b32 v15, v105 offset:14112                        // 000000005D6C: D81A3720 0000690F
	v_mfma_f32_16x16x16_f16 a[136:139], a[108:109], v[84:85], a[136:139]// 000000005D74: D3CD8088 0E22A96C
	buffer_atomic_pk_add_f16 v159, v10, s[32:35], 0 idxen      // 000000005D7C: E1382000 80089F0A
	v_mfma_f32_16x16x16_f16 a[140:143], a[110:111], v[84:85], a[140:143]// 000000005D84: D3CD808C 0E32A96E
	ds_write_b32 v15, v106 offset:15232                        // 000000005D8C: D81A3B80 00006A0F
	v_mfma_f32_16x16x16_f16 a[144:147], a[104:105], v[86:87], a[144:147]// 000000005D94: D3CD8090 0E42AD68
	v_mfma_f32_16x16x16_f16 a[148:151], a[106:107], v[86:87], a[148:151]// 000000005D9C: D3CD8094 0E52AD6A
	ds_write_b32 v15, v107 offset:16288                        // 000000005DA4: D81A3FA0 00006B0F
	v_mfma_f32_16x16x16_f16 a[152:155], a[108:109], v[86:87], a[152:155]// 000000005DAC: D3CD8098 0E62AD6C
	v_mfma_f32_16x16x16_f16 a[156:159], a[110:111], v[86:87], a[156:159]// 000000005DB4: D3CD809C 0E72AD6E
	s_waitcnt vmcnt(4) lgkmcnt(4)                              // 000000005DBC: BF8C0474
	s_barrier                                                  // 000000005DC0: BF8A0000
	v_mfma_f32_16x16x16_f16 v[148:151], a[24:25], v[52:53], 0  // 000000005DC4: D3CD0094 0A026918
	v_mul_f32_e32 v140, s49, v140                              // 000000005DCC: 0B191831
	v_mul_f32_e32 v144, s49, v144                              // 000000005DD0: 0B212031
	s_nop 0                                                    // 000000005DD4: BF800000
	v_mfma_f32_16x16x16_f16 v[148:151], a[28:29], v[54:55], v[148:151]// 000000005DD8: D3CD0094 0E526D1C
	ds_read_b128 a[96:99], v12                                 // 000000005DE0: DBFE0000 6000000C
	buffer_load_dword v40, v1, s[8:11], 0 idxen                // 000000005DE8: E0502000 80022801
	v_mfma_f32_16x16x16_f16 v[148:151], a[32:33], v[56:57], v[148:151]// 000000005DF0: D3CD0094 0E527120
	v_mfma_f32_16x16x16_f16 v[148:151], a[36:37], v[58:59], v[148:151]// 000000005DF8: D3CD0094 0E527524
	ds_read_b128 a[100:103], v12 offset:512                    // 000000005E00: DBFE0200 6400000C
	buffer_load_dword v41, v2, s[8:11], 0 idxen                // 000000005E08: E0502000 80022902
	v_mfma_f32_16x16x16_f16 v[148:151], a[40:41], v[60:61], v[148:151]// 000000005E10: D3CD0094 0E527928
	v_perm_b32 v100, v37, v36, s63                             // 000000005E18: D1ED0064 00FE4925
	v_perm_b32 v101, v37, v36, s64                             // 000000005E20: D1ED0065 01024925
	v_mfma_f32_16x16x16_f16 v[148:151], a[44:45], v[62:63], v[148:151]// 000000005E28: D3CD0094 0E527D2C
	ds_read_b128 a[104:107], v12 offset:2176                   // 000000005E30: DBFE0880 6800000C
	buffer_load_dword v42, v3, s[8:11], 0 idxen                // 000000005E38: E0502000 80022A03
	v_mfma_f32_16x16x16_f16 v[148:151], a[48:49], v[64:65], v[148:151]// 000000005E40: D3CD0094 0E528130
	v_perm_b32 v102, v39, v38, s63                             // 000000005E48: D1ED0066 00FE4D27
	v_perm_b32 v103, v39, v38, s64                             // 000000005E50: D1ED0067 01024D27
	v_mfma_f32_16x16x16_f16 v[148:151], a[52:53], v[66:67], v[148:151]// 000000005E58: D3CD0094 0E528534
	ds_read_b128 a[108:111], v12 offset:2688                   // 000000005E60: DBFE0A80 6C00000C
	buffer_load_dword v43, v4, s[8:11], 0 idxen                // 000000005E68: E0502000 80022B04
	v_mfma_f32_16x16x16_f16 v[148:151], a[56:57], v[68:69], v[148:151]// 000000005E70: D3CD0094 0E528938
	v_perm_b32 v104, v45, v44, s63                             // 000000005E78: D1ED0068 00FE592D
	v_perm_b32 v105, v45, v44, s64                             // 000000005E80: D1ED0069 0102592D
	v_mfma_f32_16x16x16_f16 v[148:151], a[60:61], v[70:71], v[148:151]// 000000005E88: D3CD0094 0E528D3C
	ds_read_b128 v[108:111], v12 offset:8704                   // 000000005E90: D9FE2200 6C00000C
	buffer_load_dword v48, v1, s[20:23], 0 idxen               // 000000005E98: E0502000 80053001
	v_mfma_f32_16x16x16_f16 v[148:151], a[64:65], v[72:73], v[148:151]// 000000005EA0: D3CD0094 0E529140
	v_perm_b32 v106, v47, v46, s63                             // 000000005EA8: D1ED006A 00FE5D2F
	v_perm_b32 v107, v47, v46, s64                             // 000000005EB0: D1ED006B 01025D2F
	v_mfma_f32_16x16x16_f16 v[148:151], a[68:69], v[74:75], v[148:151]// 000000005EB8: D3CD0094 0E529544
	ds_read_b128 v[112:115], v12 offset:9216                   // 000000005EC0: D9FE2400 7000000C
	buffer_load_dword v49, v2, s[20:23], 0 idxen               // 000000005EC8: E0502000 80053102
	v_mfma_f32_16x16x16_f16 v[152:155], a[26:27], v[52:53], 0  // 000000005ED0: D3CD0098 0A02691A
	v_mov_b32_dpp v143, v140 quad_perm:[3,3,3,3] row_mask:0xf bank_mask:0xf// 000000005ED8: 7F1E02FA FF00FF8C
	v_mov_b32_dpp v142, v140 quad_perm:[2,2,2,2] row_mask:0xf bank_mask:0xf// 000000005EE0: 7F1C02FA FF00AA8C
	v_mov_b32_dpp v141, v140 quad_perm:[1,1,1,1] row_mask:0xf bank_mask:0xf// 000000005EE8: 7F1A02FA FF00558C
	v_mov_b32_dpp v140, v140 quad_perm:[0,0,0,0] row_mask:0xf bank_mask:0xf// 000000005EF0: 7F1802FA FF00008C
	v_mfma_f32_16x16x16_f16 v[152:155], a[30:31], v[54:55], v[152:155]// 000000005EF8: D3CD0098 0E626D1E
	ds_read_b128 v[116:119], v12 offset:10880                  // 000000005F00: D9FE2A80 7400000C
	buffer_load_dword v50, v3, s[20:23], 0 idxen               // 000000005F08: E0502000 80053203
	v_mfma_f32_16x16x16_f16 v[152:155], a[34:35], v[56:57], v[152:155]// 000000005F10: D3CD0098 0E627122
	v_mov_b32_dpp v147, v144 quad_perm:[3,3,3,3] row_mask:0xf bank_mask:0xf// 000000005F18: 7F2602FA FF00FF90
	v_mov_b32_dpp v146, v144 quad_perm:[2,2,2,2] row_mask:0xf bank_mask:0xf// 000000005F20: 7F2402FA FF00AA90
	v_mov_b32_dpp v145, v144 quad_perm:[1,1,1,1] row_mask:0xf bank_mask:0xf// 000000005F28: 7F2202FA FF005590
	v_mov_b32_dpp v144, v144 quad_perm:[0,0,0,0] row_mask:0xf bank_mask:0xf// 000000005F30: 7F2002FA FF000090
	s_add_u32 s60, 0x80, s59                                   // 000000005F38: 803C3BFF 00000080
	v_mfma_f32_16x16x16_f16 v[152:155], a[38:39], v[58:59], v[152:155]// 000000005F40: D3CD0098 0E627526
	ds_read_b128 v[120:123], v12 offset:11392                  // 000000005F48: D9FE2C80 7800000C
	buffer_load_dword v51, v4, s[20:23], 0 idxen               // 000000005F50: E0502000 80053304
	v_mfma_f32_16x16x16_f16 v[152:155], a[42:43], v[60:61], v[152:155]// 000000005F58: D3CD0098 0E62792A
	s_cmp_lt_u32 s60, s58                                      // 000000005F60: BF0A3A3C
	s_cselect_b32 s68, s68, 0                                  // 000000005F64: 85448044
	s_cselect_b32 s69, s69, 0                                  // 000000005F68: 85458045
	v_mfma_f32_16x16x16_f16 v[152:155], a[46:47], v[62:63], v[152:155]// 000000005F6C: D3CD0098 0E627D2E
	buffer_load_dword v11, s[24:27], 0 idxen lds               // 000000005F74: E0512000 8006000B
	v_mfma_f32_16x16x16_f16 v[152:155], a[50:51], v[64:65], v[152:155]// 000000005F7C: D3CD0098 0E628132
	s_add_u32 s8, s68, s8                                      // 000000005F84: 80080844
	s_addc_u32 s9, 0, s9                                       // 000000005F88: 82090980
	v_mfma_f32_16x16x16_f16 v[152:155], a[54:55], v[66:67], v[152:155]// 000000005F8C: D3CD0098 0E628536
	s_add_u32 s20, s68, s20                                    // 000000005F94: 80141444
	s_addc_u32 s21, 0, s21                                     // 000000005F98: 82151580
	v_mfma_f32_16x16x16_f16 v[152:155], a[58:59], v[68:69], v[152:155]// 000000005F9C: D3CD0098 0E62893A
	s_mov_b32 m0, s74                                          // 000000005FA4: BEFC004A
	v_add_u32_e32 v11, s69, v11                                // 000000005FA8: 68161645
	v_mfma_f32_16x16x16_f16 v[152:155], a[62:63], v[70:71], v[152:155]// 000000005FAC: D3CD0098 0E628D3E
	s_cmp_ge_u32 s59, 32                                       // 000000005FB4: BF09A03B
	s_cselect_b32 s66, s67, s66                                // 000000005FB8: 85424243
	v_mfma_f32_16x16x16_f16 v[152:155], a[66:67], v[72:73], v[152:155]// 000000005FBC: D3CD0098 0E629142
	s_addk_i32 s59, 0x20                                       // 000000005FC4: B73B0020
	s_nop 0                                                    // 000000005FC8: BF800000
	s_cmp_lt_i32 s59, s58                                      // 000000005FCC: BF043A3B
	v_mfma_f32_16x16x16_f16 v[152:155], a[70:71], v[74:75], v[152:155]// 000000005FD0: D3CD0098 0E629546
	s_cbranch_scc0 label_0B57                                  // 000000005FD8: BF8402E0
	s_waitcnt lgkmcnt(4)                                       // 000000005FDC: BF8CC47F
	s_barrier                                                  // 000000005FE0: BF8A0000
	v_mfma_f32_16x16x16_f16 v[52:55], a[96:97], a[0:1], 0      // 000000005FE4: D3CD0034 1A020160
	ds_write_b32 v13, v44 offset:8704                          // 000000005FEC: D81A2200 00002C0D
	ds_write_b32 v13, v45 offset:9760                          // 000000005FF4: D81A2620 00002D0D
	v_mfma_f32_16x16x16_f16 v[52:55], a[98:99], a[2:3], v[52:55]// 000000005FFC: D3CD0034 1CD20562
	v_mul_f32_e32 v148, s48, v148                              // 000000006004: 0B292830
	v_mul_f32_e32 v149, s48, v149                              // 000000006008: 0B2B2A30
	v_mfma_f32_16x16x16_f16 v[52:55], a[100:101], a[4:5], v[52:55]// 00000000600C: D3CD0034 1CD20964
	ds_write_b32 v13, v46 offset:10880                         // 000000006014: D81A2A80 00002E0D
	ds_write_b32 v13, v47 offset:11936                         // 00000000601C: D81A2EA0 00002F0D
	v_mfma_f32_16x16x16_f16 v[52:55], a[102:103], a[6:7], v[52:55]// 000000006024: D3CD0034 1CD20D66
	v_mul_f32_e32 v150, s48, v150                              // 00000000602C: 0B2D2C30
	v_mul_f32_e32 v151, s48, v151                              // 000000006030: 0B2F2E30
	v_mfma_f32_16x16x16_f16 v[56:59], a[96:97], a[8:9], 0      // 000000006034: D3CD0038 1A021160
	v_mul_f32_e32 v152, s48, v152                              // 00000000603C: 0B313030
	v_mul_f32_e32 v153, s48, v153                              // 000000006040: 0B333230
	v_mfma_f32_16x16x16_f16 v[56:59], a[98:99], a[10:11], v[56:59]// 000000006044: D3CD0038 1CE21562
	v_mul_f32_e32 v154, s48, v154                              // 00000000604C: 0B353430
	v_mul_f32_e32 v155, s48, v155                              // 000000006050: 0B373630
	v_mfma_f32_16x16x16_f16 v[56:59], a[100:101], a[12:13], v[56:59]// 000000006054: D3CD0038 1CE21964
	v_cvt_pkrtz_f16_f32 v148, v148, v149                       // 00000000605C: D2960094 00032B94
	v_cvt_pkrtz_f16_f32 v149, v150, v151                       // 000000006064: D2960095 00032F96
	v_mfma_f32_16x16x16_f16 v[56:59], a[102:103], a[14:15], v[56:59]// 00000000606C: D3CD0038 1CE21D66
	v_cvt_pkrtz_f16_f32 v150, v152, v153                       // 000000006074: D2960096 00033398
	v_cvt_pkrtz_f16_f32 v151, v154, v155                       // 00000000607C: D2960097 0003379A
	v_mfma_f32_16x16x16_f16 v[60:63], a[96:97], a[16:17], 0    // 000000006084: D3CD003C 1A022160
	ds_write_b64 v22, v[148:149] offset:31232                  // 00000000608C: D89A7A00 00009416
	v_mfma_f32_16x16x16_f16 v[60:63], a[98:99], a[18:19], v[60:63]// 000000006094: D3CD003C 1CF22562
	v_mfma_f32_16x16x16_f16 v[60:63], a[100:101], a[20:21], v[60:63]// 00000000609C: D3CD003C 1CF22964
	ds_write_b64 v22, v[150:151] offset:31776                  // 0000000060A4: D89A7C20 00009616
	v_mfma_f32_16x16x16_f16 v[60:63], a[102:103], a[22:23], v[60:63]// 0000000060AC: D3CD003C 1CF22D66
	v_mfma_f32_16x16x16_f16 v[64:67], a[104:105], a[0:1], 0    // 0000000060B4: D3CD0040 1A020168
	ds_read_b128 v[124:127], v14 offset:13056                  // 0000000060BC: D9FE3300 7C00000E
	ds_write_b32 v13, v36                                      // 0000000060C4: D81A0000 0000240D
	v_mfma_f32_16x16x16_f16 v[64:67], a[106:107], a[2:3], v[64:67]// 0000000060CC: D3CD0040 1D02056A
	v_mfma_f32_16x16x16_f16 v[64:67], a[108:109], a[4:5], v[64:67]// 0000000060D4: D3CD0040 1D02096C
	v_mfma_f32_16x16x16_f16 v[64:67], a[110:111], a[6:7], v[64:67]// 0000000060DC: D3CD0040 1D020D6E
	ds_read_b128 v[128:131], v14 offset:13568                  // 0000000060E4: D9FE3500 8000000E
	ds_write_b32 v13, v37 offset:1056                          // 0000000060EC: D81A0420 0000250D
	v_mfma_f32_16x16x16_f16 v[68:71], a[104:105], a[8:9], 0    // 0000000060F4: D3CD0044 1A021168
	v_mfma_f32_16x16x16_f16 v[68:71], a[106:107], a[10:11], v[68:71]// 0000000060FC: D3CD0044 1D12156A
	v_mfma_f32_16x16x16_f16 v[68:71], a[108:109], a[12:13], v[68:71]// 000000006104: D3CD0044 1D12196C
	ds_read_b128 v[132:135], v14 offset:15232                  // 00000000610C: D9FE3B80 8400000E
	ds_write_b32 v13, v38 offset:2176                          // 000000006114: D81A0880 0000260D
	v_mfma_f32_16x16x16_f16 v[68:71], a[110:111], a[14:15], v[68:71]// 00000000611C: D3CD0044 1D121D6E
	v_mfma_f32_16x16x16_f16 v[72:75], a[104:105], a[16:17], 0  // 000000006124: D3CD0048 1A022168
	v_mfma_f32_16x16x16_f16 v[72:75], a[106:107], a[18:19], v[72:75]// 00000000612C: D3CD0048 1D22256A
	ds_read_b128 v[136:139], v14 offset:15744                  // 000000006134: D9FE3D80 8800000E
	ds_write_b32 v13, v39 offset:3232                          // 00000000613C: D81A0CA0 0000270D
	v_mfma_f32_16x16x16_f16 v[72:75], a[108:109], a[20:21], v[72:75]// 000000006144: D3CD0048 1D22296C
	v_mfma_f32_16x16x16_f16 v[72:75], a[110:111], a[22:23], v[72:75]// 00000000614C: D3CD0048 1D222D6E
	s_cmp_lt_i32 s73, 3                                        // 000000006154: BF048349
	s_cbranch_scc0 label_08EE                                  // 000000006158: BF840017
	s_cmp_eq_i32 s73, 1                                        // 00000000615C: BF008149
	s_cbranch_scc1 label_08DC                                  // 000000006160: BF850003
	s_cmp_eq_i32 s73, 2                                        // 000000006164: BF008249
	s_cbranch_scc1 label_08E5                                  // 000000006168: BF85000A
	s_branch label_08EE                                        // 00000000616C: BF820012

0000000000006170 <label_08DC>:
	v_mov_b32_e32 v56, v226                                    // 000000006170: 7E7003E2
	v_mov_b32_e32 v68, v226                                    // 000000006174: 7E8803E2
	v_mov_b32_e32 v57, v226                                    // 000000006178: 7E7203E2
	v_mov_b32_e32 v69, v226                                    // 00000000617C: 7E8A03E2
	v_mov_b32_e32 v58, v226                                    // 000000006180: 7E7403E2
	v_mov_b32_e32 v70, v226                                    // 000000006184: 7E8C03E2
	v_mov_b32_e32 v59, v226                                    // 000000006188: 7E7603E2
	v_mov_b32_e32 v71, v226                                    // 00000000618C: 7E8E03E2
	s_branch label_08E5                                        // 000000006190: BF820000

0000000000006194 <label_08E5>:
	v_mov_b32_e32 v60, v226                                    // 000000006194: 7E7803E2
	v_mov_b32_e32 v72, v226                                    // 000000006198: 7E9003E2
	v_mov_b32_e32 v61, v226                                    // 00000000619C: 7E7A03E2
	v_mov_b32_e32 v73, v226                                    // 0000000061A0: 7E9203E2
	v_mov_b32_e32 v62, v226                                    // 0000000061A4: 7E7C03E2
	v_mov_b32_e32 v74, v226                                    // 0000000061A8: 7E9403E2
	v_mov_b32_e32 v63, v226                                    // 0000000061AC: 7E7E03E2
	v_mov_b32_e32 v75, v226                                    // 0000000061B0: 7E9603E2
	s_branch label_08EE                                        // 0000000061B4: BF820000

00000000000061b8 <label_08EE>:
	s_waitcnt lgkmcnt(8)                                       // 0000000061B8: BF8CC87F
	s_barrier                                                  // 0000000061BC: BF8A0000
	v_mfma_f32_16x16x16_f16 v[76:79], v[108:109], a[72:73], 0  // 0000000061C0: D3CD004C 1202916C
	ds_read_b128 a[96:99], v14 offset:4352                     // 0000000061C8: DBFE1100 6000000E
	ds_read_b128 a[100:103], v14 offset:4864                   // 0000000061D0: DBFE1300 6400000E
	v_mfma_f32_16x16x16_f16 v[76:79], v[110:111], a[74:75], v[76:79]// 0000000061D8: D3CD004C 1532956E
	v_fma_f32 v52, v52, s57, -v140                             // 0000000061E0: D1CB0034 86307334
	v_fma_f32 v53, v53, s57, -v141                             // 0000000061E8: D1CB0035 86347335
	v_fma_f32 v54, v54, s57, -v142                             // 0000000061F0: D1CB0036 86387336
	v_fma_f32 v55, v55, s57, -v143                             // 0000000061F8: D1CB0037 863C7337
	v_fma_f32 v56, v56, s57, -v140                             // 000000006200: D1CB0038 86307338
	v_fma_f32 v57, v57, s57, -v141                             // 000000006208: D1CB0039 86347339
	v_mfma_f32_16x16x16_f16 v[76:79], v[112:113], a[76:77], v[76:79]// 000000006210: D3CD004C 15329970
	v_fma_f32 v58, v58, s57, -v142                             // 000000006218: D1CB003A 8638733A
	v_fma_f32 v59, v59, s57, -v143                             // 000000006220: D1CB003B 863C733B
	v_fma_f32 v60, v60, s57, -v140                             // 000000006228: D1CB003C 8630733C
	v_fma_f32 v61, v61, s57, -v141                             // 000000006230: D1CB003D 8634733D
	v_fma_f32 v62, v62, s57, -v142                             // 000000006238: D1CB003E 8638733E
	v_fma_f32 v63, v63, s57, -v143                             // 000000006240: D1CB003F 863C733F
	v_mfma_f32_16x16x16_f16 v[76:79], v[114:115], a[78:79], v[76:79]// 000000006248: D3CD004C 15329D72
	v_fma_f32 v64, v64, s57, -v144                             // 000000006250: D1CB0040 86407340
	v_fma_f32 v65, v65, s57, -v145                             // 000000006258: D1CB0041 86447341
	v_fma_f32 v66, v66, s57, -v146                             // 000000006260: D1CB0042 86487342
	v_fma_f32 v67, v67, s57, -v147                             // 000000006268: D1CB0043 864C7343
	v_fma_f32 v68, v68, s57, -v144                             // 000000006270: D1CB0044 86407344
	v_fma_f32 v69, v69, s57, -v145                             // 000000006278: D1CB0045 86447345
	v_mfma_f32_16x16x16_f16 v[80:83], v[108:109], a[80:81], 0  // 000000006280: D3CD0050 1202A16C
	ds_read_b128 a[104:107], v14 offset:6528                   // 000000006288: DBFE1980 6800000E
	ds_read_b128 a[108:111], v14 offset:7040                   // 000000006290: DBFE1B80 6C00000E
	v_mfma_f32_16x16x16_f16 v[80:83], v[110:111], a[82:83], v[80:83]// 000000006298: D3CD0050 1542A56E
	v_fma_f32 v70, v70, s57, -v146                             // 0000000062A0: D1CB0046 86487346
	v_fma_f32 v71, v71, s57, -v147                             // 0000000062A8: D1CB0047 864C7347
	v_fma_f32 v72, v72, s57, -v144                             // 0000000062B0: D1CB0048 86407348
	v_fma_f32 v73, v73, s57, -v145                             // 0000000062B8: D1CB0049 86447349
	v_fma_f32 v74, v74, s57, -v146                             // 0000000062C0: D1CB004A 8648734A
	v_fma_f32 v75, v75, s57, -v147                             // 0000000062C8: D1CB004B 864C734B
	v_mfma_f32_16x16x16_f16 v[80:83], v[112:113], a[84:85], v[80:83]// 0000000062D0: D3CD0050 1542A970
	v_exp_f32_e32 v52, v52                                     // 0000000062D8: 7E684134
	v_exp_f32_e32 v53, v53                                     // 0000000062DC: 7E6A4135
	v_mfma_f32_16x16x16_f16 v[80:83], v[114:115], a[86:87], v[80:83]// 0000000062E0: D3CD0050 1542AD72
	v_exp_f32_e32 v54, v54                                     // 0000000062E8: 7E6C4136
	v_exp_f32_e32 v55, v55                                     // 0000000062EC: 7E6E4137
	v_mfma_f32_16x16x16_f16 v[84:87], v[108:109], a[88:89], 0  // 0000000062F0: D3CD0054 1202B16C
	ds_read_b32 v156, v21 offset:31232                         // 0000000062F8: D86C7A00 9C000015
	ds_read_b32 v157, v21 offset:31248                         // 000000006300: D86C7A10 9D000015
	v_mfma_f32_16x16x16_f16 v[84:87], v[110:111], a[90:91], v[84:87]// 000000006308: D3CD0054 1552B56E
	v_exp_f32_e32 v56, v56                                     // 000000006310: 7E704138
	v_exp_f32_e32 v57, v57                                     // 000000006314: 7E724139
	v_mfma_f32_16x16x16_f16 v[84:87], v[112:113], a[92:93], v[84:87]// 000000006318: D3CD0054 1552B970
	ds_read_b32 v158, v21 offset:31264                         // 000000006320: D86C7A20 9E000015
	ds_read_b32 v159, v21 offset:31280                         // 000000006328: D86C7A30 9F000015
	v_mfma_f32_16x16x16_f16 v[84:87], v[114:115], a[94:95], v[84:87]// 000000006330: D3CD0054 1552BD72
	v_exp_f32_e32 v58, v58                                     // 000000006338: 7E74413A
	v_exp_f32_e32 v59, v59                                     // 00000000633C: 7E76413B
	v_mfma_f32_16x16x16_f16 v[88:91], v[116:117], a[72:73], 0  // 000000006340: D3CD0058 12029174
	v_exp_f32_e32 v60, v60                                     // 000000006348: 7E78413C
	v_exp_f32_e32 v61, v61                                     // 00000000634C: 7E7A413D
	v_mfma_f32_16x16x16_f16 v[88:91], v[118:119], a[74:75], v[88:91]// 000000006350: D3CD0058 15629576
	v_exp_f32_e32 v62, v62                                     // 000000006358: 7E7C413E
	v_exp_f32_e32 v63, v63                                     // 00000000635C: 7E7E413F
	v_mfma_f32_16x16x16_f16 v[88:91], v[120:121], a[76:77], v[88:91]// 000000006360: D3CD0058 15629978
	v_exp_f32_e32 v64, v64                                     // 000000006368: 7E804140
	v_exp_f32_e32 v65, v65                                     // 00000000636C: 7E824141
	v_mfma_f32_16x16x16_f16 v[88:91], v[122:123], a[78:79], v[88:91]// 000000006370: D3CD0058 15629D7A
	v_exp_f32_e32 v66, v66                                     // 000000006378: 7E844142
	v_exp_f32_e32 v67, v67                                     // 00000000637C: 7E864143
	v_mfma_f32_16x16x16_f16 v[92:95], v[116:117], a[80:81], 0  // 000000006380: D3CD005C 1202A174
	v_exp_f32_e32 v68, v68                                     // 000000006388: 7E884144
	v_exp_f32_e32 v69, v69                                     // 00000000638C: 7E8A4145
	v_mfma_f32_16x16x16_f16 v[92:95], v[118:119], a[82:83], v[92:95]// 000000006390: D3CD005C 1572A576
	v_exp_f32_e32 v70, v70                                     // 000000006398: 7E8C4146
	v_exp_f32_e32 v71, v71                                     // 00000000639C: 7E8E4147
	v_mfma_f32_16x16x16_f16 v[92:95], v[120:121], a[84:85], v[92:95]// 0000000063A0: D3CD005C 1572A978
	v_exp_f32_e32 v72, v72                                     // 0000000063A8: 7E904148
	v_exp_f32_e32 v73, v73                                     // 0000000063AC: 7E924149
	v_mfma_f32_16x16x16_f16 v[92:95], v[122:123], a[86:87], v[92:95]// 0000000063B0: D3CD005C 1572AD7A
	v_exp_f32_e32 v74, v74                                     // 0000000063B8: 7E94414A
	v_exp_f32_e32 v75, v75                                     // 0000000063BC: 7E96414B
	v_mfma_f32_16x16x16_f16 v[96:99], v[116:117], a[88:89], 0  // 0000000063C0: D3CD0060 1202B174
	v_cvt_pkrtz_f16_f32 v164, v52, v53                         // 0000000063C8: D29600A4 00026B34
	v_cvt_pkrtz_f16_f32 v165, v54, v55                         // 0000000063D0: D29600A5 00026F36
	v_cvt_pkrtz_f16_f32 v166, v56, v57                         // 0000000063D8: D29600A6 00027338
	v_cvt_pkrtz_f16_f32 v167, v58, v59                         // 0000000063E0: D29600A7 0002773A
	v_cvt_pkrtz_f16_f32 v168, v60, v61                         // 0000000063E8: D29600A8 00027B3C
	v_cvt_pkrtz_f16_f32 v169, v62, v63                         // 0000000063F0: D29600A9 00027F3E
	v_mfma_f32_16x16x16_f16 v[96:99], v[118:119], a[90:91], v[96:99]// 0000000063F8: D3CD0060 1582B576
	v_cvt_pkrtz_f16_f32 v170, v64, v65                         // 000000006400: D29600AA 00028340
	v_cvt_pkrtz_f16_f32 v171, v66, v67                         // 000000006408: D29600AB 00028742
	v_cvt_pkrtz_f16_f32 v172, v68, v69                         // 000000006410: D29600AC 00028B44
	v_cvt_pkrtz_f16_f32 v173, v70, v71                         // 000000006418: D29600AD 00028F46
	v_cvt_pkrtz_f16_f32 v174, v72, v73                         // 000000006420: D29600AE 00029348
	v_cvt_pkrtz_f16_f32 v175, v74, v75                         // 000000006428: D29600AF 0002974A
	v_mfma_f32_16x16x16_f16 v[96:99], v[120:121], a[92:93], v[96:99]// 000000006430: D3CD0060 1582B978
	s_add_u32 s32, s66, s32                                    // 000000006438: 80202042
	s_addc_u32 s33, 0, s33                                     // 00000000643C: 82212180
	v_mfma_f32_16x16x16_f16 v[96:99], v[122:123], a[94:95], v[96:99]// 000000006440: D3CD0060 1582BD7A
	s_waitcnt lgkmcnt(0)                                       // 000000006448: BF8CC07F
	s_barrier                                                  // 00000000644C: BF8A0000
	v_mfma_f32_16x16x16_f16 v[178:181], v[124:125], v[164:165], v[178:181]// 000000006450: D3CD00B2 06CB497C
	v_subrev_f32_dpp v76, v176, v76 quad_perm:[0,0,0,0] row_mask:0xf bank_mask:0xf// 000000006458: 069898FA FF0000B0
	v_subrev_f32_dpp v77, v176, v77 quad_perm:[1,1,1,1] row_mask:0xf bank_mask:0xf// 000000006460: 069A9AFA FF0055B0
	v_subrev_f32_dpp v78, v176, v78 quad_perm:[2,2,2,2] row_mask:0xf bank_mask:0xf// 000000006468: 069C9CFA FF00AAB0
	v_subrev_f32_dpp v79, v176, v79 quad_perm:[3,3,3,3] row_mask:0xf bank_mask:0xf// 000000006470: 069E9EFA FF00FFB0
	v_subrev_f32_dpp v80, v176, v80 quad_perm:[0,0,0,0] row_mask:0xf bank_mask:0xf// 000000006478: 06A0A0FA FF0000B0
	v_subrev_f32_dpp v81, v176, v81 quad_perm:[1,1,1,1] row_mask:0xf bank_mask:0xf// 000000006480: 06A2A2FA FF0055B0
	v_mfma_f32_16x16x16_f16 v[182:185], v[126:127], v[164:165], v[182:185]// 000000006488: D3CD00B6 06DB497E
	v_subrev_f32_dpp v82, v176, v82 quad_perm:[2,2,2,2] row_mask:0xf bank_mask:0xf// 000000006490: 06A4A4FA FF00AAB0
	v_subrev_f32_dpp v83, v176, v83 quad_perm:[3,3,3,3] row_mask:0xf bank_mask:0xf// 000000006498: 06A6A6FA FF00FFB0
	v_subrev_f32_dpp v84, v176, v84 quad_perm:[0,0,0,0] row_mask:0xf bank_mask:0xf// 0000000064A0: 06A8A8FA FF0000B0
	v_subrev_f32_dpp v85, v176, v85 quad_perm:[1,1,1,1] row_mask:0xf bank_mask:0xf// 0000000064A8: 06AAAAFA FF0055B0
	v_subrev_f32_dpp v86, v176, v86 quad_perm:[2,2,2,2] row_mask:0xf bank_mask:0xf// 0000000064B0: 06ACACFA FF00AAB0
	v_subrev_f32_dpp v87, v176, v87 quad_perm:[3,3,3,3] row_mask:0xf bank_mask:0xf// 0000000064B8: 06AEAEFA FF00FFB0
	v_mfma_f32_16x16x16_f16 v[186:189], v[128:129], v[164:165], v[186:189]// 0000000064C0: D3CD00BA 06EB4980
	v_mul_f32_e32 v76, v52, v76                                // 0000000064C8: 0A989934
	v_mul_f32_e32 v77, v53, v77                                // 0000000064CC: 0A9A9B35
	v_mul_f32_e32 v78, v54, v78                                // 0000000064D0: 0A9C9D36
	v_mul_f32_e32 v79, v55, v79                                // 0000000064D4: 0A9E9F37
	v_mul_f32_e32 v80, v56, v80                                // 0000000064D8: 0AA0A138
	v_mul_f32_e32 v81, v57, v81                                // 0000000064DC: 0AA2A339
	v_mfma_f32_16x16x16_f16 v[190:193], v[130:131], v[164:165], v[190:193]// 0000000064E0: D3CD00BE 06FB4982
	v_mul_f32_e32 v82, v58, v82                                // 0000000064E8: 0AA4A53A
	v_mul_f32_e32 v83, v59, v83                                // 0000000064EC: 0AA6A73B
	v_mul_f32_e32 v84, v60, v84                                // 0000000064F0: 0AA8A93C
	v_mul_f32_e32 v85, v61, v85                                // 0000000064F4: 0AAAAB3D
	v_mul_f32_e32 v86, v62, v86                                // 0000000064F8: 0AACAD3E
	v_mul_f32_e32 v87, v63, v87                                // 0000000064FC: 0AAEAF3F
	v_mfma_f32_16x16x16_f16 v[194:197], v[124:125], v[166:167], v[194:197]// 000000006500: D3CD00C2 070B4D7C
	v_cvt_pkrtz_f16_f32 v76, v76, v77                          // 000000006508: D296004C 00029B4C
	v_cvt_pkrtz_f16_f32 v77, v78, v79                          // 000000006510: D296004D 00029F4E
	v_cvt_pkrtz_f16_f32 v78, v80, v81                          // 000000006518: D296004E 0002A350
	v_cvt_pkrtz_f16_f32 v79, v82, v83                          // 000000006520: D296004F 0002A752
	v_cvt_pkrtz_f16_f32 v80, v84, v85                          // 000000006528: D2960050 0002AB54
	v_cvt_pkrtz_f16_f32 v81, v86, v87                          // 000000006530: D2960051 0002AF56
	v_mfma_f32_16x16x16_f16 v[198:201], v[126:127], v[166:167], v[198:201]// 000000006538: D3CD00C6 071B4D7E
	v_mov_b32_dpp v18, v76 quad_perm:[1,0,3,2] row_mask:0xf bank_mask:0xf// 000000006540: 7E2402FA FF00B14C
	v_perm_b32 v52, v18, v76, v17                              // 000000006548: D1ED0034 04469912
	v_mov_b32_dpp v18, v77 quad_perm:[1,0,3,2] row_mask:0xf bank_mask:0xf// 000000006550: 7E2402FA FF00B14D
	v_perm_b32 v53, v18, v77, v17                              // 000000006558: D1ED0035 04469B12
	v_mov_b32_dpp v18, v78 quad_perm:[1,0,3,2] row_mask:0xf bank_mask:0xf// 000000006560: 7E2402FA FF00B14E
	v_perm_b32 v54, v18, v78, v17                              // 000000006568: D1ED0036 04469D12
	v_mfma_f32_16x16x16_f16 v[202:205], v[128:129], v[166:167], v[202:205]// 000000006570: D3CD00CA 072B4D80
	v_mov_b32_dpp v18, v79 quad_perm:[1,0,3,2] row_mask:0xf bank_mask:0xf// 000000006578: 7E2402FA FF00B14F
	v_perm_b32 v55, v18, v79, v17                              // 000000006580: D1ED0037 04469F12
	v_mov_b32_dpp v18, v80 quad_perm:[1,0,3,2] row_mask:0xf bank_mask:0xf// 000000006588: 7E2402FA FF00B150
	v_perm_b32 v56, v18, v80, v17                              // 000000006590: D1ED0038 0446A112
	v_mov_b32_dpp v18, v81 quad_perm:[1,0,3,2] row_mask:0xf bank_mask:0xf// 000000006598: 7E2402FA FF00B151
	v_perm_b32 v57, v18, v81, v17                              // 0000000065A0: D1ED0039 0446A312
	v_mfma_f32_16x16x16_f16 v[206:209], v[130:131], v[166:167], v[206:209]// 0000000065A8: D3CD00CE 073B4D82
	ds_write_b32 v20, v52 offset:17408                         // 0000000065B0: D81A4400 00003414
	ds_write_b32 v20, v53 offset:17952                         // 0000000065B8: D81A4620 00003514
	v_mfma_f32_16x16x16_f16 v[210:213], v[124:125], v[168:169], v[210:213]// 0000000065C0: D3CD00D2 074B517C
	v_subrev_f32_dpp v88, v177, v88 quad_perm:[0,0,0,0] row_mask:0xf bank_mask:0xf// 0000000065C8: 06B0B0FA FF0000B1
	v_subrev_f32_dpp v89, v177, v89 quad_perm:[1,1,1,1] row_mask:0xf bank_mask:0xf// 0000000065D0: 06B2B2FA FF0055B1
	v_subrev_f32_dpp v90, v177, v90 quad_perm:[2,2,2,2] row_mask:0xf bank_mask:0xf// 0000000065D8: 06B4B4FA FF00AAB1
	v_subrev_f32_dpp v91, v177, v91 quad_perm:[3,3,3,3] row_mask:0xf bank_mask:0xf// 0000000065E0: 06B6B6FA FF00FFB1
	v_subrev_f32_dpp v92, v177, v92 quad_perm:[0,0,0,0] row_mask:0xf bank_mask:0xf// 0000000065E8: 06B8B8FA FF0000B1
	v_subrev_f32_dpp v93, v177, v93 quad_perm:[1,1,1,1] row_mask:0xf bank_mask:0xf// 0000000065F0: 06BABAFA FF0055B1
	v_mfma_f32_16x16x16_f16 v[214:217], v[126:127], v[168:169], v[214:217]// 0000000065F8: D3CD00D6 075B517E
	ds_write_b32 v20, v54 offset:19712                         // 000000006600: D81A4D00 00003614
	ds_write_b32 v20, v55 offset:20256                         // 000000006608: D81A4F20 00003714
	v_mfma_f32_16x16x16_f16 v[218:221], v[128:129], v[168:169], v[218:221]// 000000006610: D3CD00DA 076B5180
	v_subrev_f32_dpp v94, v177, v94 quad_perm:[2,2,2,2] row_mask:0xf bank_mask:0xf// 000000006618: 06BCBCFA FF00AAB1
	v_subrev_f32_dpp v95, v177, v95 quad_perm:[3,3,3,3] row_mask:0xf bank_mask:0xf// 000000006620: 06BEBEFA FF00FFB1
	v_subrev_f32_dpp v96, v177, v96 quad_perm:[0,0,0,0] row_mask:0xf bank_mask:0xf// 000000006628: 06C0C0FA FF0000B1
	v_subrev_f32_dpp v97, v177, v97 quad_perm:[1,1,1,1] row_mask:0xf bank_mask:0xf// 000000006630: 06C2C2FA FF0055B1
	v_subrev_f32_dpp v98, v177, v98 quad_perm:[2,2,2,2] row_mask:0xf bank_mask:0xf// 000000006638: 06C4C4FA FF00AAB1
	v_subrev_f32_dpp v99, v177, v99 quad_perm:[3,3,3,3] row_mask:0xf bank_mask:0xf// 000000006640: 06C6C6FA FF00FFB1
	v_mfma_f32_16x16x16_f16 v[222:225], v[130:131], v[168:169], v[222:225]// 000000006648: D3CD00DE 077B5182
	ds_write_b32 v20, v56 offset:22016                         // 000000006650: D81A5600 00003814
	ds_write_b32 v20, v57 offset:22560                         // 000000006658: D81A5820 00003914
	v_mfma_f32_16x16x16_f16 v[178:181], v[132:133], v[170:171], v[178:181]// 000000006660: D3CD00B2 06CB5584
	v_mul_f32_e32 v88, v64, v88                                // 000000006668: 0AB0B140
	v_mul_f32_e32 v89, v65, v89                                // 00000000666C: 0AB2B341
	v_mul_f32_e32 v90, v66, v90                                // 000000006670: 0AB4B542
	v_mul_f32_e32 v91, v67, v91                                // 000000006674: 0AB6B743
	v_mul_f32_e32 v92, v68, v92                                // 000000006678: 0AB8B944
	v_mul_f32_e32 v93, v69, v93                                // 00000000667C: 0ABABB45
	v_mfma_f32_16x16x16_f16 v[182:185], v[134:135], v[170:171], v[182:185]// 000000006680: D3CD00B6 06DB5586
	v_mul_f32_e32 v94, v70, v94                                // 000000006688: 0ABCBD46
	v_mul_f32_e32 v95, v71, v95                                // 00000000668C: 0ABEBF47
	v_mul_f32_e32 v96, v72, v96                                // 000000006690: 0AC0C148
	v_mul_f32_e32 v97, v73, v97                                // 000000006694: 0AC2C349
	v_mul_f32_e32 v98, v74, v98                                // 000000006698: 0AC4C54A
	v_mul_f32_e32 v99, v75, v99                                // 00000000669C: 0AC6C74B
	v_mfma_f32_16x16x16_f16 v[186:189], v[136:137], v[170:171], v[186:189]// 0000000066A0: D3CD00BA 06EB5588
	v_cvt_pkrtz_f16_f32 v82, v88, v89                          // 0000000066A8: D2960052 0002B358
	v_cvt_pkrtz_f16_f32 v83, v90, v91                          // 0000000066B0: D2960053 0002B75A
	v_cvt_pkrtz_f16_f32 v84, v92, v93                          // 0000000066B8: D2960054 0002BB5C
	v_cvt_pkrtz_f16_f32 v85, v94, v95                          // 0000000066C0: D2960055 0002BF5E
	v_cvt_pkrtz_f16_f32 v86, v96, v97                          // 0000000066C8: D2960056 0002C360
	v_cvt_pkrtz_f16_f32 v87, v98, v99                          // 0000000066D0: D2960057 0002C762
	v_mfma_f32_16x16x16_f16 v[190:193], v[138:139], v[170:171], v[190:193]// 0000000066D8: D3CD00BE 06FB558A
	v_mov_b32_dpp v18, v82 quad_perm:[1,0,3,2] row_mask:0xf bank_mask:0xf// 0000000066E0: 7E2402FA FF00B152
	v_perm_b32 v58, v18, v82, v17                              // 0000000066E8: D1ED003A 0446A512
	v_mov_b32_dpp v18, v83 quad_perm:[1,0,3,2] row_mask:0xf bank_mask:0xf// 0000000066F0: 7E2402FA FF00B153
	v_perm_b32 v59, v18, v83, v17                              // 0000000066F8: D1ED003B 0446A712
	v_mov_b32_dpp v18, v84 quad_perm:[1,0,3,2] row_mask:0xf bank_mask:0xf// 000000006700: 7E2402FA FF00B154
	v_perm_b32 v60, v18, v84, v17                              // 000000006708: D1ED003C 0446A912
	v_mfma_f32_16x16x16_f16 v[194:197], v[132:133], v[172:173], v[194:197]// 000000006710: D3CD00C2 070B5984
	v_mov_b32_dpp v18, v85 quad_perm:[1,0,3,2] row_mask:0xf bank_mask:0xf// 000000006718: 7E2402FA FF00B155
	v_perm_b32 v61, v18, v85, v17                              // 000000006720: D1ED003D 0446AB12
	v_mov_b32_dpp v18, v86 quad_perm:[1,0,3,2] row_mask:0xf bank_mask:0xf// 000000006728: 7E2402FA FF00B156
	v_perm_b32 v62, v18, v86, v17                              // 000000006730: D1ED003E 0446AD12
	v_mov_b32_dpp v18, v87 quad_perm:[1,0,3,2] row_mask:0xf bank_mask:0xf// 000000006738: 7E2402FA FF00B157
	v_perm_b32 v63, v18, v87, v17                              // 000000006740: D1ED003F 0446AF12
	v_mfma_f32_16x16x16_f16 v[198:201], v[134:135], v[172:173], v[198:201]// 000000006748: D3CD00C6 071B5986
	ds_write_b32 v20, v58 offset:24320                         // 000000006750: D81A5F00 00003A14
	ds_write_b32 v20, v59 offset:24864                         // 000000006758: D81A6120 00003B14
	v_mfma_f32_16x16x16_f16 v[202:205], v[136:137], v[172:173], v[202:205]// 000000006760: D3CD00CA 072B5988
	v_mfma_f32_16x16x16_f16 v[206:209], v[138:139], v[172:173], v[206:209]// 000000006768: D3CD00CE 073B598A
	ds_write_b32 v20, v60 offset:26624                         // 000000006770: D81A6800 00003C14
	ds_write_b32 v20, v61 offset:27168                         // 000000006778: D81A6A20 00003D14
	ds_write_b32 v20, v62 offset:28928                         // 000000006780: D81A7100 00003E14
	ds_write_b32 v20, v63 offset:29472                         // 000000006788: D81A7320 00003F14
	v_mfma_f32_16x16x16_f16 v[210:213], v[132:133], v[174:175], v[210:213]// 000000006790: D3CD00D2 074B5D84
	v_mfma_f32_16x16x16_f16 v[214:217], v[134:135], v[174:175], v[214:217]// 000000006798: D3CD00D6 075B5D86
	ds_write_b32 v15, v100 offset:4352                         // 0000000067A0: D81A1100 0000640F
	ds_write_b32 v15, v101 offset:5408                         // 0000000067A8: D81A1520 0000650F
	v_mfma_f32_16x16x16_f16 v[218:221], v[136:137], v[174:175], v[218:221]// 0000000067B0: D3CD00DA 076B5D88
	s_nop 0                                                    // 0000000067B8: BF800000
	s_nop 0                                                    // 0000000067BC: BF800000
	s_nop 0                                                    // 0000000067C0: BF800000
	v_mfma_f32_16x16x16_f16 v[222:225], v[138:139], v[174:175], v[222:225]// 0000000067C4: D3CD00DE 077B5D8A
	ds_write_b32 v15, v102 offset:6528                         // 0000000067CC: D81A1980 0000660F
	ds_write_b32 v15, v103 offset:7584                         // 0000000067D4: D81A1DA0 0000670F
	s_barrier                                                  // 0000000067DC: BF8A0000
	v_mfma_f32_16x16x16_f16 a[112:115], a[96:97], v[76:77], a[112:115]// 0000000067E0: D3CD8070 0DC29960
	buffer_atomic_pk_add_f16 v156, v7, s[32:35], 0 idxen       // 0000000067E8: E1382000 80089C07
	v_mfma_f32_16x16x16_f16 a[116:119], a[98:99], v[76:77], a[116:119]// 0000000067F0: D3CD8074 0DD29962
	ds_read_b32 v140, v23 offset:35584                         // 0000000067F8: D86C8B00 8C000017
	ds_read_b32 v144, v23 offset:35648                         // 000000006800: D86C8B40 90000017
	ds_read_b32 v176, v23 offset:35840                         // 000000006808: D86C8C00 B0000017
	ds_read_b32 v177, v23 offset:35904                         // 000000006810: D86C8C40 B1000017
	v_mfma_f32_16x16x16_f16 a[120:123], a[100:101], v[76:77], a[120:123]// 000000006818: D3CD8078 0DE29964
	s_waitcnt lgkmcnt(8)                                       // 000000006820: BF8CC87F
	s_barrier                                                  // 000000006824: BF8A0000
	v_mfma_f32_16x16x16_f16 a[124:127], a[102:103], v[76:77], a[124:127]// 000000006828: D3CD807C 0DF29966
	ds_read_b128 v[52:55], v19 offset:17408                    // 000000006830: D9FE4400 34000013
	v_mfma_f32_16x16x16_f16 a[128:131], a[96:97], v[78:79], a[128:131]// 000000006838: D3CD8080 0E029D60
	v_mfma_f32_16x16x16_f16 a[132:135], a[98:99], v[78:79], a[132:135]// 000000006840: D3CD8084 0E129D62
	ds_read_b128 v[56:59], v19 offset:18560                    // 000000006848: D9FE4880 38000013
	v_mfma_f32_16x16x16_f16 a[136:139], a[100:101], v[78:79], a[136:139]// 000000006850: D3CD8088 0E229D64
	buffer_atomic_pk_add_f16 v157, v8, s[32:35], 0 idxen       // 000000006858: E1382000 80089D08
	v_mfma_f32_16x16x16_f16 a[140:143], a[102:103], v[78:79], a[140:143]// 000000006860: D3CD808C 0E329D66
	ds_read_b128 v[60:63], v19 offset:19712                    // 000000006868: D9FE4D00 3C000013
	v_mfma_f32_16x16x16_f16 a[144:147], a[96:97], v[80:81], a[144:147]// 000000006870: D3CD8090 0E42A160
	v_mfma_f32_16x16x16_f16 a[148:151], a[98:99], v[80:81], a[148:151]// 000000006878: D3CD8094 0E52A162
	ds_read_b128 v[64:67], v19 offset:20864                    // 000000006880: D9FE5180 40000013
	v_mfma_f32_16x16x16_f16 a[152:155], a[100:101], v[80:81], a[152:155]// 000000006888: D3CD8098 0E62A164
	v_mfma_f32_16x16x16_f16 a[156:159], a[102:103], v[80:81], a[156:159]// 000000006890: D3CD809C 0E72A166
	ds_read_b128 v[68:71], v19 offset:22016                    // 000000006898: D9FE5600 44000013
	v_mfma_f32_16x16x16_f16 a[112:115], a[104:105], v[82:83], a[112:115]// 0000000068A0: D3CD8070 0DC2A568
	buffer_atomic_pk_add_f16 v158, v9, s[32:35], 0 idxen       // 0000000068A8: E1382000 80089E09
	v_mfma_f32_16x16x16_f16 a[116:119], a[106:107], v[82:83], a[116:119]// 0000000068B0: D3CD8074 0DD2A56A
	ds_read_b128 v[72:75], v19 offset:23168                    // 0000000068B8: D9FE5A80 48000013
	v_mfma_f32_16x16x16_f16 a[120:123], a[108:109], v[82:83], a[120:123]// 0000000068C0: D3CD8078 0DE2A56C
	v_mfma_f32_16x16x16_f16 a[124:127], a[110:111], v[82:83], a[124:127]// 0000000068C8: D3CD807C 0DF2A56E
	ds_write_b32 v15, v104 offset:13056                        // 0000000068D0: D81A3300 0000680F
	v_mfma_f32_16x16x16_f16 a[128:131], a[104:105], v[84:85], a[128:131]// 0000000068D8: D3CD8080 0E02A968
	v_mfma_f32_16x16x16_f16 a[132:135], a[106:107], v[84:85], a[132:135]// 0000000068E0: D3CD8084 0E12A96A
	ds_write_b32 v15, v105 offset:14112                        // 0000000068E8: D81A3720 0000690F
	v_mfma_f32_16x16x16_f16 a[136:139], a[108:109], v[84:85], a[136:139]// 0000000068F0: D3CD8088 0E22A96C
	buffer_atomic_pk_add_f16 v159, v10, s[32:35], 0 idxen      // 0000000068F8: E1382000 80089F0A
	v_mfma_f32_16x16x16_f16 a[140:143], a[110:111], v[84:85], a[140:143]// 000000006900: D3CD808C 0E32A96E
	ds_write_b32 v15, v106 offset:15232                        // 000000006908: D81A3B80 00006A0F
	v_mfma_f32_16x16x16_f16 a[144:147], a[104:105], v[86:87], a[144:147]// 000000006910: D3CD8090 0E42AD68
	v_mfma_f32_16x16x16_f16 a[148:151], a[106:107], v[86:87], a[148:151]// 000000006918: D3CD8094 0E52AD6A
	ds_write_b32 v15, v107 offset:16288                        // 000000006920: D81A3FA0 00006B0F
	v_mfma_f32_16x16x16_f16 a[152:155], a[108:109], v[86:87], a[152:155]// 000000006928: D3CD8098 0E62AD6C
	v_mfma_f32_16x16x16_f16 a[156:159], a[110:111], v[86:87], a[156:159]// 000000006930: D3CD809C 0E72AD6E
	s_waitcnt vmcnt(4) lgkmcnt(4)                              // 000000006938: BF8C0474
	s_barrier                                                  // 00000000693C: BF8A0000
	v_mfma_f32_16x16x16_f16 v[148:151], a[24:25], v[52:53], 0  // 000000006940: D3CD0094 0A026918
	v_mul_f32_e32 v140, s49, v140                              // 000000006948: 0B191831
	v_mul_f32_e32 v144, s49, v144                              // 00000000694C: 0B212031
	s_nop 0                                                    // 000000006950: BF800000
	v_mfma_f32_16x16x16_f16 v[148:151], a[28:29], v[54:55], v[148:151]// 000000006954: D3CD0094 0E526D1C
	ds_read_b128 a[96:99], v12                                 // 00000000695C: DBFE0000 6000000C
	buffer_load_dword v36, v1, s[8:11], 0 idxen                // 000000006964: E0502000 80022401
	v_mfma_f32_16x16x16_f16 v[148:151], a[32:33], v[56:57], v[148:151]// 00000000696C: D3CD0094 0E527120
	v_mfma_f32_16x16x16_f16 v[148:151], a[36:37], v[58:59], v[148:151]// 000000006974: D3CD0094 0E527524
	ds_read_b128 a[100:103], v12 offset:512                    // 00000000697C: DBFE0200 6400000C
	buffer_load_dword v37, v2, s[8:11], 0 idxen                // 000000006984: E0502000 80022502
	v_mfma_f32_16x16x16_f16 v[148:151], a[40:41], v[60:61], v[148:151]// 00000000698C: D3CD0094 0E527928
	v_perm_b32 v100, v41, v40, s63                             // 000000006994: D1ED0064 00FE5129
	v_perm_b32 v101, v41, v40, s64                             // 00000000699C: D1ED0065 01025129
	v_mfma_f32_16x16x16_f16 v[148:151], a[44:45], v[62:63], v[148:151]// 0000000069A4: D3CD0094 0E527D2C
	ds_read_b128 a[104:107], v12 offset:2176                   // 0000000069AC: DBFE0880 6800000C
	buffer_load_dword v38, v3, s[8:11], 0 idxen                // 0000000069B4: E0502000 80022603
	v_mfma_f32_16x16x16_f16 v[148:151], a[48:49], v[64:65], v[148:151]// 0000000069BC: D3CD0094 0E528130
	v_perm_b32 v102, v43, v42, s63                             // 0000000069C4: D1ED0066 00FE552B
	v_perm_b32 v103, v43, v42, s64                             // 0000000069CC: D1ED0067 0102552B
	v_mfma_f32_16x16x16_f16 v[148:151], a[52:53], v[66:67], v[148:151]// 0000000069D4: D3CD0094 0E528534
	ds_read_b128 a[108:111], v12 offset:2688                   // 0000000069DC: DBFE0A80 6C00000C
	buffer_load_dword v39, v4, s[8:11], 0 idxen                // 0000000069E4: E0502000 80022704
	v_mfma_f32_16x16x16_f16 v[148:151], a[56:57], v[68:69], v[148:151]// 0000000069EC: D3CD0094 0E528938
	v_perm_b32 v104, v49, v48, s63                             // 0000000069F4: D1ED0068 00FE6131
	v_perm_b32 v105, v49, v48, s64                             // 0000000069FC: D1ED0069 01026131
	v_mfma_f32_16x16x16_f16 v[148:151], a[60:61], v[70:71], v[148:151]// 000000006A04: D3CD0094 0E528D3C
	ds_read_b128 v[108:111], v12 offset:8704                   // 000000006A0C: D9FE2200 6C00000C
	buffer_load_dword v44, v1, s[20:23], 0 idxen               // 000000006A14: E0502000 80052C01
	v_mfma_f32_16x16x16_f16 v[148:151], a[64:65], v[72:73], v[148:151]// 000000006A1C: D3CD0094 0E529140
	v_perm_b32 v106, v51, v50, s63                             // 000000006A24: D1ED006A 00FE6533
	v_perm_b32 v107, v51, v50, s64                             // 000000006A2C: D1ED006B 01026533
	v_mfma_f32_16x16x16_f16 v[148:151], a[68:69], v[74:75], v[148:151]// 000000006A34: D3CD0094 0E529544
	ds_read_b128 v[112:115], v12 offset:9216                   // 000000006A3C: D9FE2400 7000000C
	buffer_load_dword v45, v2, s[20:23], 0 idxen               // 000000006A44: E0502000 80052D02
	v_mfma_f32_16x16x16_f16 v[152:155], a[26:27], v[52:53], 0  // 000000006A4C: D3CD0098 0A02691A
	v_mov_b32_dpp v143, v140 quad_perm:[3,3,3,3] row_mask:0xf bank_mask:0xf// 000000006A54: 7F1E02FA FF00FF8C
	v_mov_b32_dpp v142, v140 quad_perm:[2,2,2,2] row_mask:0xf bank_mask:0xf// 000000006A5C: 7F1C02FA FF00AA8C
	v_mov_b32_dpp v141, v140 quad_perm:[1,1,1,1] row_mask:0xf bank_mask:0xf// 000000006A64: 7F1A02FA FF00558C
	v_mov_b32_dpp v140, v140 quad_perm:[0,0,0,0] row_mask:0xf bank_mask:0xf// 000000006A6C: 7F1802FA FF00008C
	v_mfma_f32_16x16x16_f16 v[152:155], a[30:31], v[54:55], v[152:155]// 000000006A74: D3CD0098 0E626D1E
	ds_read_b128 v[116:119], v12 offset:10880                  // 000000006A7C: D9FE2A80 7400000C
	buffer_load_dword v46, v3, s[20:23], 0 idxen               // 000000006A84: E0502000 80052E03
	v_mfma_f32_16x16x16_f16 v[152:155], a[34:35], v[56:57], v[152:155]// 000000006A8C: D3CD0098 0E627122
	v_mov_b32_dpp v147, v144 quad_perm:[3,3,3,3] row_mask:0xf bank_mask:0xf// 000000006A94: 7F2602FA FF00FF90
	v_mov_b32_dpp v146, v144 quad_perm:[2,2,2,2] row_mask:0xf bank_mask:0xf// 000000006A9C: 7F2402FA FF00AA90
	v_mov_b32_dpp v145, v144 quad_perm:[1,1,1,1] row_mask:0xf bank_mask:0xf// 000000006AA4: 7F2202FA FF005590
	v_mov_b32_dpp v144, v144 quad_perm:[0,0,0,0] row_mask:0xf bank_mask:0xf// 000000006AAC: 7F2002FA FF000090
	s_add_u32 s60, 0x80, s59                                   // 000000006AB4: 803C3BFF 00000080
	v_mfma_f32_16x16x16_f16 v[152:155], a[38:39], v[58:59], v[152:155]// 000000006ABC: D3CD0098 0E627526
	ds_read_b128 v[120:123], v12 offset:11392                  // 000000006AC4: D9FE2C80 7800000C
	buffer_load_dword v47, v4, s[20:23], 0 idxen               // 000000006ACC: E0502000 80052F04
	v_mfma_f32_16x16x16_f16 v[152:155], a[42:43], v[60:61], v[152:155]// 000000006AD4: D3CD0098 0E62792A
	s_cmp_lt_u32 s60, s58                                      // 000000006ADC: BF0A3A3C
	s_cselect_b32 s68, s68, 0                                  // 000000006AE0: 85448044
	s_cselect_b32 s69, s69, 0                                  // 000000006AE4: 85458045
	v_mfma_f32_16x16x16_f16 v[152:155], a[46:47], v[62:63], v[152:155]// 000000006AE8: D3CD0098 0E627D2E
	buffer_load_dword v11, s[24:27], 0 idxen lds               // 000000006AF0: E0512000 8006000B
	v_mfma_f32_16x16x16_f16 v[152:155], a[50:51], v[64:65], v[152:155]// 000000006AF8: D3CD0098 0E628132
	s_add_u32 s8, s68, s8                                      // 000000006B00: 80080844
	s_addc_u32 s9, 0, s9                                       // 000000006B04: 82090980
	v_mfma_f32_16x16x16_f16 v[152:155], a[54:55], v[66:67], v[152:155]// 000000006B08: D3CD0098 0E628536
	s_add_u32 s20, s68, s20                                    // 000000006B10: 80141444
	s_addc_u32 s21, 0, s21                                     // 000000006B14: 82151580
	v_mfma_f32_16x16x16_f16 v[152:155], a[58:59], v[68:69], v[152:155]// 000000006B18: D3CD0098 0E62893A
	s_mov_b32 m0, s75                                          // 000000006B20: BEFC004B
	v_add_u32_e32 v11, s69, v11                                // 000000006B24: 68161645
	v_mfma_f32_16x16x16_f16 v[152:155], a[62:63], v[70:71], v[152:155]// 000000006B28: D3CD0098 0E628D3E
	s_cmp_ge_u32 s59, 32                                       // 000000006B30: BF09A03B
	s_cselect_b32 s66, s67, s66                                // 000000006B34: 85424243
	v_mfma_f32_16x16x16_f16 v[152:155], a[66:67], v[72:73], v[152:155]// 000000006B38: D3CD0098 0E629142
	s_addk_i32 s59, 0x20                                       // 000000006B40: B73B0020
	s_nop 0                                                    // 000000006B44: BF800000
	s_cmp_lt_i32 s59, s58                                      // 000000006B48: BF043A3B
	v_mfma_f32_16x16x16_f16 v[152:155], a[70:71], v[74:75], v[152:155]// 000000006B4C: D3CD0098 0E629546
	s_cbranch_scc0 label_0B57                                  // 000000006B54: BF840001
	s_branch label_0598                                        // 000000006B58: BF82FA41

0000000000006b5c <label_0B57>:
	s_nop 0                                                    // 000000006B5C: BF800000
	s_nop 0                                                    // 000000006B60: BF800000
	s_branch label_1119                                        // 000000006B64: BF8205BF

0000000000006b68 <label_0B5A>:
	s_waitcnt lgkmcnt(4)                                       // 000000006B68: BF8CC47F
	s_barrier                                                  // 000000006B6C: BF8A0000
	v_mfma_f32_16x16x16_f16 v[52:55], a[96:97], a[0:1], 0      // 000000006B70: D3CD0034 1A020160
	v_mul_f32_e32 v148, s48, v148                              // 000000006B78: 0B292830
	v_mul_f32_e32 v149, s48, v149                              // 000000006B7C: 0B2B2A30
	v_mfma_f32_16x16x16_f16 v[52:55], a[98:99], a[2:3], v[52:55]// 000000006B80: D3CD0034 1CD20562
	ds_write_b32 v13, v48 offset:8704                          // 000000006B88: D81A2200 0000300D
	ds_write_b32 v13, v49 offset:9760                          // 000000006B90: D81A2620 0000310D
	v_mfma_f32_16x16x16_f16 v[52:55], a[100:101], a[4:5], v[52:55]// 000000006B98: D3CD0034 1CD20964
	v_mul_f32_e32 v150, s48, v150                              // 000000006BA0: 0B2D2C30
	v_mul_f32_e32 v151, s48, v151                              // 000000006BA4: 0B2F2E30
	v_mfma_f32_16x16x16_f16 v[52:55], a[102:103], a[6:7], v[52:55]// 000000006BA8: D3CD0034 1CD20D66
	ds_write_b32 v13, v50 offset:10880                         // 000000006BB0: D81A2A80 0000320D
	ds_write_b32 v13, v51 offset:11936                         // 000000006BB8: D81A2EA0 0000330D
	v_mfma_f32_16x16x16_f16 v[56:59], a[96:97], a[8:9], 0      // 000000006BC0: D3CD0038 1A021160
	v_mul_f32_e32 v152, s48, v152                              // 000000006BC8: 0B313030
	v_mul_f32_e32 v153, s48, v153                              // 000000006BCC: 0B333230
	v_mfma_f32_16x16x16_f16 v[56:59], a[98:99], a[10:11], v[56:59]// 000000006BD0: D3CD0038 1CE21562
	v_mul_f32_e32 v154, s48, v154                              // 000000006BD8: 0B353430
	v_mul_f32_e32 v155, s48, v155                              // 000000006BDC: 0B373630
	v_mfma_f32_16x16x16_f16 v[56:59], a[100:101], a[12:13], v[56:59]// 000000006BE0: D3CD0038 1CE21964
	v_cvt_pkrtz_f16_f32 v148, v148, v149                       // 000000006BE8: D2960094 00032B94
	v_cvt_pkrtz_f16_f32 v149, v150, v151                       // 000000006BF0: D2960095 00032F96
	v_mfma_f32_16x16x16_f16 v[56:59], a[102:103], a[14:15], v[56:59]// 000000006BF8: D3CD0038 1CE21D66
	v_cvt_pkrtz_f16_f32 v150, v152, v153                       // 000000006C00: D2960096 00033398
	v_cvt_pkrtz_f16_f32 v151, v154, v155                       // 000000006C08: D2960097 0003379A
	v_mfma_f32_16x16x16_f16 v[60:63], a[96:97], a[16:17], 0    // 000000006C10: D3CD003C 1A022160
	v_mfma_f32_16x16x16_f16 v[60:63], a[98:99], a[18:19], v[60:63]// 000000006C18: D3CD003C 1CF22562
	ds_write_b64 v22, v[148:149] offset:31232                  // 000000006C20: D89A7A00 00009416
	v_mfma_f32_16x16x16_f16 v[60:63], a[100:101], a[20:21], v[60:63]// 000000006C28: D3CD003C 1CF22964
	v_mfma_f32_16x16x16_f16 v[60:63], a[102:103], a[22:23], v[60:63]// 000000006C30: D3CD003C 1CF22D66
	ds_write_b64 v22, v[150:151] offset:31776                  // 000000006C38: D89A7C20 00009616
	v_mfma_f32_16x16x16_f16 v[64:67], a[104:105], a[0:1], 0    // 000000006C40: D3CD0040 1A020168
	v_mfma_f32_16x16x16_f16 v[64:67], a[106:107], a[2:3], v[64:67]// 000000006C48: D3CD0040 1D02056A
	ds_read_b128 v[124:127], v14 offset:13056                  // 000000006C50: D9FE3300 7C00000E
	ds_write_b32 v13, v40                                      // 000000006C58: D81A0000 0000280D
	v_mfma_f32_16x16x16_f16 v[64:67], a[108:109], a[4:5], v[64:67]// 000000006C60: D3CD0040 1D02096C
	v_mfma_f32_16x16x16_f16 v[64:67], a[110:111], a[6:7], v[64:67]// 000000006C68: D3CD0040 1D020D6E
	v_mfma_f32_16x16x16_f16 v[68:71], a[104:105], a[8:9], 0    // 000000006C70: D3CD0044 1A021168
	ds_read_b128 v[128:131], v14 offset:13568                  // 000000006C78: D9FE3500 8000000E
	ds_write_b32 v13, v41 offset:1056                          // 000000006C80: D81A0420 0000290D
	v_mfma_f32_16x16x16_f16 v[68:71], a[106:107], a[10:11], v[68:71]// 000000006C88: D3CD0044 1D12156A
	v_mfma_f32_16x16x16_f16 v[68:71], a[108:109], a[12:13], v[68:71]// 000000006C90: D3CD0044 1D12196C
	v_mfma_f32_16x16x16_f16 v[68:71], a[110:111], a[14:15], v[68:71]// 000000006C98: D3CD0044 1D121D6E
	ds_read_b128 v[132:135], v14 offset:15232                  // 000000006CA0: D9FE3B80 8400000E
	ds_write_b32 v13, v42 offset:2176                          // 000000006CA8: D81A0880 00002A0D
	v_mfma_f32_16x16x16_f16 v[72:75], a[104:105], a[16:17], 0  // 000000006CB0: D3CD0048 1A022168
	v_mfma_f32_16x16x16_f16 v[72:75], a[106:107], a[18:19], v[72:75]// 000000006CB8: D3CD0048 1D22256A
	v_mfma_f32_16x16x16_f16 v[72:75], a[108:109], a[20:21], v[72:75]// 000000006CC0: D3CD0048 1D22296C
	ds_read_b128 v[136:139], v14 offset:15744                  // 000000006CC8: D9FE3D80 8800000E
	ds_write_b32 v13, v43 offset:3232                          // 000000006CD0: D81A0CA0 00002B0D
	v_mfma_f32_16x16x16_f16 v[72:75], a[110:111], a[22:23], v[72:75]// 000000006CD8: D3CD0048 1D222D6E
	s_cmp_lt_i32 s73, 3                                        // 000000006CE0: BF048349
	s_cbranch_scc0 label_0BD1                                  // 000000006CE4: BF840017
	s_cmp_eq_i32 s73, 1                                        // 000000006CE8: BF008149
	s_cbranch_scc1 label_0BBF                                  // 000000006CEC: BF850003
	s_cmp_eq_i32 s73, 2                                        // 000000006CF0: BF008249
	s_cbranch_scc1 label_0BC8                                  // 000000006CF4: BF85000A
	s_branch label_0BD1                                        // 000000006CF8: BF820012

0000000000006cfc <label_0BBF>:
	v_mov_b32_e32 v56, v226                                    // 000000006CFC: 7E7003E2
	v_mov_b32_e32 v68, v226                                    // 000000006D00: 7E8803E2
	v_mov_b32_e32 v57, v226                                    // 000000006D04: 7E7203E2
	v_mov_b32_e32 v69, v226                                    // 000000006D08: 7E8A03E2
	v_mov_b32_e32 v58, v226                                    // 000000006D0C: 7E7403E2
	v_mov_b32_e32 v70, v226                                    // 000000006D10: 7E8C03E2
	v_mov_b32_e32 v59, v226                                    // 000000006D14: 7E7603E2
	v_mov_b32_e32 v71, v226                                    // 000000006D18: 7E8E03E2
	s_branch label_0BC8                                        // 000000006D1C: BF820000

0000000000006d20 <label_0BC8>:
	v_mov_b32_e32 v60, v226                                    // 000000006D20: 7E7803E2
	v_mov_b32_e32 v72, v226                                    // 000000006D24: 7E9003E2
	v_mov_b32_e32 v61, v226                                    // 000000006D28: 7E7A03E2
	v_mov_b32_e32 v73, v226                                    // 000000006D2C: 7E9203E2
	v_mov_b32_e32 v62, v226                                    // 000000006D30: 7E7C03E2
	v_mov_b32_e32 v74, v226                                    // 000000006D34: 7E9403E2
	v_mov_b32_e32 v63, v226                                    // 000000006D38: 7E7E03E2
	v_mov_b32_e32 v75, v226                                    // 000000006D3C: 7E9603E2
	s_branch label_0BD1                                        // 000000006D40: BF820000

0000000000006d44 <label_0BD1>:
	s_waitcnt lgkmcnt(8)                                       // 000000006D44: BF8CC87F
	s_barrier                                                  // 000000006D48: BF8A0000
	v_mfma_f32_16x16x16_f16 v[76:79], v[108:109], a[72:73], 0  // 000000006D4C: D3CD004C 1202916C
	v_fma_f32 v52, v52, s57, -v140                             // 000000006D54: D1CB0034 86307334
	v_fma_f32 v53, v53, s57, -v141                             // 000000006D5C: D1CB0035 86347335
	v_fma_f32 v54, v54, s57, -v142                             // 000000006D64: D1CB0036 86387336
	v_fma_f32 v55, v55, s57, -v143                             // 000000006D6C: D1CB0037 863C7337
	v_fma_f32 v56, v56, s57, -v140                             // 000000006D74: D1CB0038 86307338
	v_fma_f32 v57, v57, s57, -v141                             // 000000006D7C: D1CB0039 86347339
	v_mfma_f32_16x16x16_f16 v[76:79], v[110:111], a[74:75], v[76:79]// 000000006D84: D3CD004C 1532956E
	ds_read_b128 a[96:99], v14 offset:4352                     // 000000006D8C: DBFE1100 6000000E
	ds_read_b128 a[100:103], v14 offset:4864                   // 000000006D94: DBFE1300 6400000E
	v_mfma_f32_16x16x16_f16 v[76:79], v[112:113], a[76:77], v[76:79]// 000000006D9C: D3CD004C 15329970
	v_fma_f32 v58, v58, s57, -v142                             // 000000006DA4: D1CB003A 8638733A
	v_fma_f32 v59, v59, s57, -v143                             // 000000006DAC: D1CB003B 863C733B
	v_fma_f32 v60, v60, s57, -v140                             // 000000006DB4: D1CB003C 8630733C
	v_fma_f32 v61, v61, s57, -v141                             // 000000006DBC: D1CB003D 8634733D
	v_fma_f32 v62, v62, s57, -v142                             // 000000006DC4: D1CB003E 8638733E
	v_fma_f32 v63, v63, s57, -v143                             // 000000006DCC: D1CB003F 863C733F
	v_mfma_f32_16x16x16_f16 v[76:79], v[114:115], a[78:79], v[76:79]// 000000006DD4: D3CD004C 15329D72
	v_fma_f32 v64, v64, s57, -v144                             // 000000006DDC: D1CB0040 86407340
	v_fma_f32 v65, v65, s57, -v145                             // 000000006DE4: D1CB0041 86447341
	v_fma_f32 v66, v66, s57, -v146                             // 000000006DEC: D1CB0042 86487342
	v_fma_f32 v67, v67, s57, -v147                             // 000000006DF4: D1CB0043 864C7343
	v_fma_f32 v68, v68, s57, -v144                             // 000000006DFC: D1CB0044 86407344
	v_fma_f32 v69, v69, s57, -v145                             // 000000006E04: D1CB0045 86447345
	v_mfma_f32_16x16x16_f16 v[80:83], v[108:109], a[80:81], 0  // 000000006E0C: D3CD0050 1202A16C
	v_fma_f32 v70, v70, s57, -v146                             // 000000006E14: D1CB0046 86487346
	v_fma_f32 v71, v71, s57, -v147                             // 000000006E1C: D1CB0047 864C7347
	v_fma_f32 v72, v72, s57, -v144                             // 000000006E24: D1CB0048 86407348
	v_fma_f32 v73, v73, s57, -v145                             // 000000006E2C: D1CB0049 86447349
	v_fma_f32 v74, v74, s57, -v146                             // 000000006E34: D1CB004A 8648734A
	v_fma_f32 v75, v75, s57, -v147                             // 000000006E3C: D1CB004B 864C734B
	v_mfma_f32_16x16x16_f16 v[80:83], v[110:111], a[82:83], v[80:83]// 000000006E44: D3CD0050 1542A56E
	ds_read_b128 a[104:107], v14 offset:6528                   // 000000006E4C: DBFE1980 6800000E
	ds_read_b128 a[108:111], v14 offset:7040                   // 000000006E54: DBFE1B80 6C00000E
	v_mfma_f32_16x16x16_f16 v[80:83], v[112:113], a[84:85], v[80:83]// 000000006E5C: D3CD0050 1542A970
	v_exp_f32_e32 v52, v52                                     // 000000006E64: 7E684134
	v_exp_f32_e32 v53, v53                                     // 000000006E68: 7E6A4135
	v_mfma_f32_16x16x16_f16 v[80:83], v[114:115], a[86:87], v[80:83]// 000000006E6C: D3CD0050 1542AD72
	v_exp_f32_e32 v54, v54                                     // 000000006E74: 7E6C4136
	v_exp_f32_e32 v55, v55                                     // 000000006E78: 7E6E4137
	v_mfma_f32_16x16x16_f16 v[84:87], v[108:109], a[88:89], 0  // 000000006E7C: D3CD0054 1202B16C
	v_exp_f32_e32 v56, v56                                     // 000000006E84: 7E704138
	v_exp_f32_e32 v57, v57                                     // 000000006E88: 7E724139
	v_mfma_f32_16x16x16_f16 v[84:87], v[110:111], a[90:91], v[84:87]// 000000006E8C: D3CD0054 1552B56E
	ds_read_b32 v156, v21 offset:31232                         // 000000006E94: D86C7A00 9C000015
	ds_read_b32 v157, v21 offset:31248                         // 000000006E9C: D86C7A10 9D000015
	v_mfma_f32_16x16x16_f16 v[84:87], v[112:113], a[92:93], v[84:87]// 000000006EA4: D3CD0054 1552B970
	v_exp_f32_e32 v58, v58                                     // 000000006EAC: 7E74413A
	v_exp_f32_e32 v59, v59                                     // 000000006EB0: 7E76413B
	v_mfma_f32_16x16x16_f16 v[84:87], v[114:115], a[94:95], v[84:87]// 000000006EB4: D3CD0054 1552BD72
	ds_read_b32 v158, v21 offset:31264                         // 000000006EBC: D86C7A20 9E000015
	ds_read_b32 v159, v21 offset:31280                         // 000000006EC4: D86C7A30 9F000015
	v_mfma_f32_16x16x16_f16 v[88:91], v[116:117], a[72:73], 0  // 000000006ECC: D3CD0058 12029174
	v_exp_f32_e32 v60, v60                                     // 000000006ED4: 7E78413C
	v_exp_f32_e32 v61, v61                                     // 000000006ED8: 7E7A413D
	v_mfma_f32_16x16x16_f16 v[88:91], v[118:119], a[74:75], v[88:91]// 000000006EDC: D3CD0058 15629576
	v_exp_f32_e32 v62, v62                                     // 000000006EE4: 7E7C413E
	v_exp_f32_e32 v63, v63                                     // 000000006EE8: 7E7E413F
	v_mfma_f32_16x16x16_f16 v[88:91], v[120:121], a[76:77], v[88:91]// 000000006EEC: D3CD0058 15629978
	v_exp_f32_e32 v64, v64                                     // 000000006EF4: 7E804140
	v_exp_f32_e32 v65, v65                                     // 000000006EF8: 7E824141
	v_mfma_f32_16x16x16_f16 v[88:91], v[122:123], a[78:79], v[88:91]// 000000006EFC: D3CD0058 15629D7A
	v_exp_f32_e32 v66, v66                                     // 000000006F04: 7E844142
	v_exp_f32_e32 v67, v67                                     // 000000006F08: 7E864143
	v_mfma_f32_16x16x16_f16 v[92:95], v[116:117], a[80:81], 0  // 000000006F0C: D3CD005C 1202A174
	v_exp_f32_e32 v68, v68                                     // 000000006F14: 7E884144
	v_exp_f32_e32 v69, v69                                     // 000000006F18: 7E8A4145
	v_mfma_f32_16x16x16_f16 v[92:95], v[118:119], a[82:83], v[92:95]// 000000006F1C: D3CD005C 1572A576
	v_exp_f32_e32 v70, v70                                     // 000000006F24: 7E8C4146
	v_exp_f32_e32 v71, v71                                     // 000000006F28: 7E8E4147
	v_mfma_f32_16x16x16_f16 v[92:95], v[120:121], a[84:85], v[92:95]// 000000006F2C: D3CD005C 1572A978
	v_exp_f32_e32 v72, v72                                     // 000000006F34: 7E904148
	v_exp_f32_e32 v73, v73                                     // 000000006F38: 7E924149
	v_mfma_f32_16x16x16_f16 v[92:95], v[122:123], a[86:87], v[92:95]// 000000006F3C: D3CD005C 1572AD7A
	v_exp_f32_e32 v74, v74                                     // 000000006F44: 7E94414A
	v_exp_f32_e32 v75, v75                                     // 000000006F48: 7E96414B
	v_mfma_f32_16x16x16_f16 v[96:99], v[116:117], a[88:89], 0  // 000000006F4C: D3CD0060 1202B174
	v_cvt_pkrtz_f16_f32 v164, v52, v53                         // 000000006F54: D29600A4 00026B34
	v_cvt_pkrtz_f16_f32 v165, v54, v55                         // 000000006F5C: D29600A5 00026F36
	v_cvt_pkrtz_f16_f32 v166, v56, v57                         // 000000006F64: D29600A6 00027338
	v_cvt_pkrtz_f16_f32 v167, v58, v59                         // 000000006F6C: D29600A7 0002773A
	v_cvt_pkrtz_f16_f32 v168, v60, v61                         // 000000006F74: D29600A8 00027B3C
	v_cvt_pkrtz_f16_f32 v169, v62, v63                         // 000000006F7C: D29600A9 00027F3E
	v_mfma_f32_16x16x16_f16 v[96:99], v[118:119], a[90:91], v[96:99]// 000000006F84: D3CD0060 1582B576
	v_cvt_pkrtz_f16_f32 v170, v64, v65                         // 000000006F8C: D29600AA 00028340
	v_cvt_pkrtz_f16_f32 v171, v66, v67                         // 000000006F94: D29600AB 00028742
	v_cvt_pkrtz_f16_f32 v172, v68, v69                         // 000000006F9C: D29600AC 00028B44
	v_cvt_pkrtz_f16_f32 v173, v70, v71                         // 000000006FA4: D29600AD 00028F46
	v_cvt_pkrtz_f16_f32 v174, v72, v73                         // 000000006FAC: D29600AE 00029348
	v_cvt_pkrtz_f16_f32 v175, v74, v75                         // 000000006FB4: D29600AF 0002974A
	v_mfma_f32_16x16x16_f16 v[96:99], v[120:121], a[92:93], v[96:99]// 000000006FBC: D3CD0060 1582B978
	s_add_u32 s32, s66, s32                                    // 000000006FC4: 80202042
	s_addc_u32 s33, 0, s33                                     // 000000006FC8: 82212180
	v_mfma_f32_16x16x16_f16 v[96:99], v[122:123], a[94:95], v[96:99]// 000000006FCC: D3CD0060 1582BD7A
	s_waitcnt lgkmcnt(0)                                       // 000000006FD4: BF8CC07F
	s_barrier                                                  // 000000006FD8: BF8A0000
	v_mfma_f32_16x16x16_f16 v[178:181], v[124:125], v[164:165], v[178:181]// 000000006FDC: D3CD00B2 06CB497C
	v_subrev_f32_dpp v76, v176, v76 quad_perm:[0,0,0,0] row_mask:0xf bank_mask:0xf// 000000006FE4: 069898FA FF0000B0
	v_subrev_f32_dpp v77, v176, v77 quad_perm:[1,1,1,1] row_mask:0xf bank_mask:0xf// 000000006FEC: 069A9AFA FF0055B0
	v_subrev_f32_dpp v78, v176, v78 quad_perm:[2,2,2,2] row_mask:0xf bank_mask:0xf// 000000006FF4: 069C9CFA FF00AAB0
	v_subrev_f32_dpp v79, v176, v79 quad_perm:[3,3,3,3] row_mask:0xf bank_mask:0xf// 000000006FFC: 069E9EFA FF00FFB0
	v_subrev_f32_dpp v80, v176, v80 quad_perm:[0,0,0,0] row_mask:0xf bank_mask:0xf// 000000007004: 06A0A0FA FF0000B0
	v_subrev_f32_dpp v81, v176, v81 quad_perm:[1,1,1,1] row_mask:0xf bank_mask:0xf// 00000000700C: 06A2A2FA FF0055B0
	v_mfma_f32_16x16x16_f16 v[182:185], v[126:127], v[164:165], v[182:185]// 000000007014: D3CD00B6 06DB497E
	v_subrev_f32_dpp v82, v176, v82 quad_perm:[2,2,2,2] row_mask:0xf bank_mask:0xf// 00000000701C: 06A4A4FA FF00AAB0
	v_subrev_f32_dpp v83, v176, v83 quad_perm:[3,3,3,3] row_mask:0xf bank_mask:0xf// 000000007024: 06A6A6FA FF00FFB0
	v_subrev_f32_dpp v84, v176, v84 quad_perm:[0,0,0,0] row_mask:0xf bank_mask:0xf// 00000000702C: 06A8A8FA FF0000B0
	v_subrev_f32_dpp v85, v176, v85 quad_perm:[1,1,1,1] row_mask:0xf bank_mask:0xf// 000000007034: 06AAAAFA FF0055B0
	v_subrev_f32_dpp v86, v176, v86 quad_perm:[2,2,2,2] row_mask:0xf bank_mask:0xf// 00000000703C: 06ACACFA FF00AAB0
	v_subrev_f32_dpp v87, v176, v87 quad_perm:[3,3,3,3] row_mask:0xf bank_mask:0xf// 000000007044: 06AEAEFA FF00FFB0
	v_mfma_f32_16x16x16_f16 v[186:189], v[128:129], v[164:165], v[186:189]// 00000000704C: D3CD00BA 06EB4980
	v_mul_f32_e32 v76, v52, v76                                // 000000007054: 0A989934
	v_mul_f32_e32 v77, v53, v77                                // 000000007058: 0A9A9B35
	v_mul_f32_e32 v78, v54, v78                                // 00000000705C: 0A9C9D36
	v_mul_f32_e32 v79, v55, v79                                // 000000007060: 0A9E9F37
	v_mul_f32_e32 v80, v56, v80                                // 000000007064: 0AA0A138
	v_mul_f32_e32 v81, v57, v81                                // 000000007068: 0AA2A339
	v_mfma_f32_16x16x16_f16 v[190:193], v[130:131], v[164:165], v[190:193]// 00000000706C: D3CD00BE 06FB4982
	v_mul_f32_e32 v82, v58, v82                                // 000000007074: 0AA4A53A
	v_mul_f32_e32 v83, v59, v83                                // 000000007078: 0AA6A73B
	v_mul_f32_e32 v84, v60, v84                                // 00000000707C: 0AA8A93C
	v_mul_f32_e32 v85, v61, v85                                // 000000007080: 0AAAAB3D
	v_mul_f32_e32 v86, v62, v86                                // 000000007084: 0AACAD3E
	v_mul_f32_e32 v87, v63, v87                                // 000000007088: 0AAEAF3F
	v_mfma_f32_16x16x16_f16 v[194:197], v[124:125], v[166:167], v[194:197]// 00000000708C: D3CD00C2 070B4D7C
	v_cvt_pkrtz_f16_f32 v76, v76, v77                          // 000000007094: D296004C 00029B4C
	v_cvt_pkrtz_f16_f32 v77, v78, v79                          // 00000000709C: D296004D 00029F4E
	v_cvt_pkrtz_f16_f32 v78, v80, v81                          // 0000000070A4: D296004E 0002A350
	v_cvt_pkrtz_f16_f32 v79, v82, v83                          // 0000000070AC: D296004F 0002A752
	v_cvt_pkrtz_f16_f32 v80, v84, v85                          // 0000000070B4: D2960050 0002AB54
	v_cvt_pkrtz_f16_f32 v81, v86, v87                          // 0000000070BC: D2960051 0002AF56
	v_mfma_f32_16x16x16_f16 v[198:201], v[126:127], v[166:167], v[198:201]// 0000000070C4: D3CD00C6 071B4D7E
	v_mov_b32_dpp v18, v76 quad_perm:[1,0,3,2] row_mask:0xf bank_mask:0xf// 0000000070CC: 7E2402FA FF00B14C
	v_perm_b32 v52, v18, v76, v17                              // 0000000070D4: D1ED0034 04469912
	v_mov_b32_dpp v18, v77 quad_perm:[1,0,3,2] row_mask:0xf bank_mask:0xf// 0000000070DC: 7E2402FA FF00B14D
	v_perm_b32 v53, v18, v77, v17                              // 0000000070E4: D1ED0035 04469B12
	v_mov_b32_dpp v18, v78 quad_perm:[1,0,3,2] row_mask:0xf bank_mask:0xf// 0000000070EC: 7E2402FA FF00B14E
	v_perm_b32 v54, v18, v78, v17                              // 0000000070F4: D1ED0036 04469D12
	v_mfma_f32_16x16x16_f16 v[202:205], v[128:129], v[166:167], v[202:205]// 0000000070FC: D3CD00CA 072B4D80
	ds_write_b32 v20, v52 offset:17408                         // 000000007104: D81A4400 00003414
	ds_write_b32 v20, v53 offset:17952                         // 00000000710C: D81A4620 00003514
	v_mfma_f32_16x16x16_f16 v[206:209], v[130:131], v[166:167], v[206:209]// 000000007114: D3CD00CE 073B4D82
	v_mov_b32_dpp v18, v79 quad_perm:[1,0,3,2] row_mask:0xf bank_mask:0xf// 00000000711C: 7E2402FA FF00B14F
	v_perm_b32 v55, v18, v79, v17                              // 000000007124: D1ED0037 04469F12
	v_mov_b32_dpp v18, v80 quad_perm:[1,0,3,2] row_mask:0xf bank_mask:0xf// 00000000712C: 7E2402FA FF00B150
	v_perm_b32 v56, v18, v80, v17                              // 000000007134: D1ED0038 0446A112
	v_mov_b32_dpp v18, v81 quad_perm:[1,0,3,2] row_mask:0xf bank_mask:0xf// 00000000713C: 7E2402FA FF00B151
	v_perm_b32 v57, v18, v81, v17                              // 000000007144: D1ED0039 0446A312
	v_mfma_f32_16x16x16_f16 v[210:213], v[124:125], v[168:169], v[210:213]// 00000000714C: D3CD00D2 074B517C
	ds_write_b32 v20, v54 offset:19712                         // 000000007154: D81A4D00 00003614
	ds_write_b32 v20, v55 offset:20256                         // 00000000715C: D81A4F20 00003714
	v_mfma_f32_16x16x16_f16 v[214:217], v[126:127], v[168:169], v[214:217]// 000000007164: D3CD00D6 075B517E
	v_subrev_f32_dpp v88, v177, v88 quad_perm:[0,0,0,0] row_mask:0xf bank_mask:0xf// 00000000716C: 06B0B0FA FF0000B1
	v_subrev_f32_dpp v89, v177, v89 quad_perm:[1,1,1,1] row_mask:0xf bank_mask:0xf// 000000007174: 06B2B2FA FF0055B1
	v_subrev_f32_dpp v90, v177, v90 quad_perm:[2,2,2,2] row_mask:0xf bank_mask:0xf// 00000000717C: 06B4B4FA FF00AAB1
	v_subrev_f32_dpp v91, v177, v91 quad_perm:[3,3,3,3] row_mask:0xf bank_mask:0xf// 000000007184: 06B6B6FA FF00FFB1
	v_subrev_f32_dpp v92, v177, v92 quad_perm:[0,0,0,0] row_mask:0xf bank_mask:0xf// 00000000718C: 06B8B8FA FF0000B1
	v_subrev_f32_dpp v93, v177, v93 quad_perm:[1,1,1,1] row_mask:0xf bank_mask:0xf// 000000007194: 06BABAFA FF0055B1
	v_mfma_f32_16x16x16_f16 v[218:221], v[128:129], v[168:169], v[218:221]// 00000000719C: D3CD00DA 076B5180
	ds_write_b32 v20, v56 offset:22016                         // 0000000071A4: D81A5600 00003814
	ds_write_b32 v20, v57 offset:22560                         // 0000000071AC: D81A5820 00003914
	v_mfma_f32_16x16x16_f16 v[222:225], v[130:131], v[168:169], v[222:225]// 0000000071B4: D3CD00DE 077B5182
	v_subrev_f32_dpp v94, v177, v94 quad_perm:[2,2,2,2] row_mask:0xf bank_mask:0xf// 0000000071BC: 06BCBCFA FF00AAB1
	v_subrev_f32_dpp v95, v177, v95 quad_perm:[3,3,3,3] row_mask:0xf bank_mask:0xf// 0000000071C4: 06BEBEFA FF00FFB1
	v_subrev_f32_dpp v96, v177, v96 quad_perm:[0,0,0,0] row_mask:0xf bank_mask:0xf// 0000000071CC: 06C0C0FA FF0000B1
	v_subrev_f32_dpp v97, v177, v97 quad_perm:[1,1,1,1] row_mask:0xf bank_mask:0xf// 0000000071D4: 06C2C2FA FF0055B1
	v_subrev_f32_dpp v98, v177, v98 quad_perm:[2,2,2,2] row_mask:0xf bank_mask:0xf// 0000000071DC: 06C4C4FA FF00AAB1
	v_subrev_f32_dpp v99, v177, v99 quad_perm:[3,3,3,3] row_mask:0xf bank_mask:0xf// 0000000071E4: 06C6C6FA FF00FFB1
	v_mfma_f32_16x16x16_f16 v[178:181], v[132:133], v[170:171], v[178:181]// 0000000071EC: D3CD00B2 06CB5584
	v_mul_f32_e32 v88, v64, v88                                // 0000000071F4: 0AB0B140
	v_mul_f32_e32 v89, v65, v89                                // 0000000071F8: 0AB2B341
	v_mul_f32_e32 v90, v66, v90                                // 0000000071FC: 0AB4B542
	v_mul_f32_e32 v91, v67, v91                                // 000000007200: 0AB6B743
	v_mul_f32_e32 v92, v68, v92                                // 000000007204: 0AB8B944
	v_mul_f32_e32 v93, v69, v93                                // 000000007208: 0ABABB45
	v_mfma_f32_16x16x16_f16 v[182:185], v[134:135], v[170:171], v[182:185]// 00000000720C: D3CD00B6 06DB5586
	v_mul_f32_e32 v94, v70, v94                                // 000000007214: 0ABCBD46
	v_mul_f32_e32 v95, v71, v95                                // 000000007218: 0ABEBF47
	v_mul_f32_e32 v96, v72, v96                                // 00000000721C: 0AC0C148
	v_mul_f32_e32 v97, v73, v97                                // 000000007220: 0AC2C349
	v_mul_f32_e32 v98, v74, v98                                // 000000007224: 0AC4C54A
	v_mul_f32_e32 v99, v75, v99                                // 000000007228: 0AC6C74B
	v_mfma_f32_16x16x16_f16 v[186:189], v[136:137], v[170:171], v[186:189]// 00000000722C: D3CD00BA 06EB5588
	v_cvt_pkrtz_f16_f32 v82, v88, v89                          // 000000007234: D2960052 0002B358
	v_cvt_pkrtz_f16_f32 v83, v90, v91                          // 00000000723C: D2960053 0002B75A
	v_cvt_pkrtz_f16_f32 v84, v92, v93                          // 000000007244: D2960054 0002BB5C
	v_cvt_pkrtz_f16_f32 v85, v94, v95                          // 00000000724C: D2960055 0002BF5E
	v_cvt_pkrtz_f16_f32 v86, v96, v97                          // 000000007254: D2960056 0002C360
	v_cvt_pkrtz_f16_f32 v87, v98, v99                          // 00000000725C: D2960057 0002C762
	v_mfma_f32_16x16x16_f16 v[190:193], v[138:139], v[170:171], v[190:193]// 000000007264: D3CD00BE 06FB558A
	v_mov_b32_dpp v18, v82 quad_perm:[1,0,3,2] row_mask:0xf bank_mask:0xf// 00000000726C: 7E2402FA FF00B152
	v_perm_b32 v58, v18, v82, v17                              // 000000007274: D1ED003A 0446A512
	v_mov_b32_dpp v18, v83 quad_perm:[1,0,3,2] row_mask:0xf bank_mask:0xf// 00000000727C: 7E2402FA FF00B153
	v_perm_b32 v59, v18, v83, v17                              // 000000007284: D1ED003B 0446A712
	v_mov_b32_dpp v18, v84 quad_perm:[1,0,3,2] row_mask:0xf bank_mask:0xf// 00000000728C: 7E2402FA FF00B154
	v_perm_b32 v60, v18, v84, v17                              // 000000007294: D1ED003C 0446A912
	v_mfma_f32_16x16x16_f16 v[194:197], v[132:133], v[172:173], v[194:197]// 00000000729C: D3CD00C2 070B5984
	ds_write_b32 v20, v58 offset:24320                         // 0000000072A4: D81A5F00 00003A14
	ds_write_b32 v20, v59 offset:24864                         // 0000000072AC: D81A6120 00003B14
	v_mfma_f32_16x16x16_f16 v[198:201], v[134:135], v[172:173], v[198:201]// 0000000072B4: D3CD00C6 071B5986
	v_mov_b32_dpp v18, v85 quad_perm:[1,0,3,2] row_mask:0xf bank_mask:0xf// 0000000072BC: 7E2402FA FF00B155
	v_perm_b32 v61, v18, v85, v17                              // 0000000072C4: D1ED003D 0446AB12
	v_mov_b32_dpp v18, v86 quad_perm:[1,0,3,2] row_mask:0xf bank_mask:0xf// 0000000072CC: 7E2402FA FF00B156
	v_perm_b32 v62, v18, v86, v17                              // 0000000072D4: D1ED003E 0446AD12
	v_mov_b32_dpp v18, v87 quad_perm:[1,0,3,2] row_mask:0xf bank_mask:0xf// 0000000072DC: 7E2402FA FF00B157
	v_perm_b32 v63, v18, v87, v17                              // 0000000072E4: D1ED003F 0446AF12
	v_mfma_f32_16x16x16_f16 v[202:205], v[136:137], v[172:173], v[202:205]// 0000000072EC: D3CD00CA 072B5988
	ds_write_b32 v20, v60 offset:26624                         // 0000000072F4: D81A6800 00003C14
	ds_write_b32 v20, v61 offset:27168                         // 0000000072FC: D81A6A20 00003D14
	ds_write_b32 v20, v62 offset:28928                         // 000000007304: D81A7100 00003E14
	ds_write_b32 v20, v63 offset:29472                         // 00000000730C: D81A7320 00003F14
	v_mfma_f32_16x16x16_f16 v[206:209], v[138:139], v[172:173], v[206:209]// 000000007314: D3CD00CE 073B598A
	v_mfma_f32_16x16x16_f16 v[210:213], v[132:133], v[174:175], v[210:213]// 00000000731C: D3CD00D2 074B5D84
	ds_write_b32 v15, v100 offset:4352                         // 000000007324: D81A1100 0000640F
	ds_write_b32 v15, v101 offset:5408                         // 00000000732C: D81A1520 0000650F
	v_mfma_f32_16x16x16_f16 v[214:217], v[134:135], v[174:175], v[214:217]// 000000007334: D3CD00D6 075B5D86
	v_mfma_f32_16x16x16_f16 v[218:221], v[136:137], v[174:175], v[218:221]// 00000000733C: D3CD00DA 076B5D88
	ds_write_b32 v15, v102 offset:6528                         // 000000007344: D81A1980 0000660F
	ds_write_b32 v15, v103 offset:7584                         // 00000000734C: D81A1DA0 0000670F
	v_mfma_f32_16x16x16_f16 v[222:225], v[138:139], v[174:175], v[222:225]// 000000007354: D3CD00DE 077B5D8A
	s_nop 0                                                    // 00000000735C: BF800000
	s_nop 0                                                    // 000000007360: BF800000
	s_nop 0                                                    // 000000007364: BF800000
	s_barrier                                                  // 000000007368: BF8A0000
	v_mfma_f32_16x16x16_f16 a[112:115], a[96:97], v[76:77], a[112:115]// 00000000736C: D3CD8070 0DC29960
	ds_read_b32 v140, v23 offset:36096                         // 000000007374: D86C8D00 8C000017
	ds_read_b32 v144, v23 offset:36160                         // 00000000737C: D86C8D40 90000017
	ds_read_b32 v176, v23 offset:36352                         // 000000007384: D86C8E00 B0000017
	ds_read_b32 v177, v23 offset:36416                         // 00000000738C: D86C8E40 B1000017
	v_mfma_f32_16x16x16_f16 a[116:119], a[98:99], v[76:77], a[116:119]// 000000007394: D3CD8074 0DD29962
	buffer_atomic_pk_add_f16 v156, v7, s[32:35], 0 idxen       // 00000000739C: E1382000 80089C07
	v_mfma_f32_16x16x16_f16 a[120:123], a[100:101], v[76:77], a[120:123]// 0000000073A4: D3CD8078 0DE29964
	s_waitcnt lgkmcnt(8)                                       // 0000000073AC: BF8CC87F
	s_barrier                                                  // 0000000073B0: BF8A0000
	v_mfma_f32_16x16x16_f16 a[124:127], a[102:103], v[76:77], a[124:127]// 0000000073B4: D3CD807C 0DF29966
	v_mfma_f32_16x16x16_f16 a[128:131], a[96:97], v[78:79], a[128:131]// 0000000073BC: D3CD8080 0E029D60
	ds_read_b128 v[52:55], v19 offset:17408                    // 0000000073C4: D9FE4400 34000013
	v_mfma_f32_16x16x16_f16 a[132:135], a[98:99], v[78:79], a[132:135]// 0000000073CC: D3CD8084 0E129D62
	v_mfma_f32_16x16x16_f16 a[136:139], a[100:101], v[78:79], a[136:139]// 0000000073D4: D3CD8088 0E229D64
	ds_read_b128 v[56:59], v19 offset:18560                    // 0000000073DC: D9FE4880 38000013
	v_mfma_f32_16x16x16_f16 a[140:143], a[102:103], v[78:79], a[140:143]// 0000000073E4: D3CD808C 0E329D66
	buffer_atomic_pk_add_f16 v157, v8, s[32:35], 0 idxen       // 0000000073EC: E1382000 80089D08
	v_mfma_f32_16x16x16_f16 a[144:147], a[96:97], v[80:81], a[144:147]// 0000000073F4: D3CD8090 0E42A160
	ds_read_b128 v[60:63], v19 offset:19712                    // 0000000073FC: D9FE4D00 3C000013
	v_mfma_f32_16x16x16_f16 a[148:151], a[98:99], v[80:81], a[148:151]// 000000007404: D3CD8094 0E52A162
	v_mfma_f32_16x16x16_f16 a[152:155], a[100:101], v[80:81], a[152:155]// 00000000740C: D3CD8098 0E62A164
	ds_read_b128 v[64:67], v19 offset:20864                    // 000000007414: D9FE5180 40000013
	v_mfma_f32_16x16x16_f16 a[156:159], a[102:103], v[80:81], a[156:159]// 00000000741C: D3CD809C 0E72A166
	v_mfma_f32_16x16x16_f16 a[112:115], a[104:105], v[82:83], a[112:115]// 000000007424: D3CD8070 0DC2A568
	ds_read_b128 v[68:71], v19 offset:22016                    // 00000000742C: D9FE5600 44000013
	v_mfma_f32_16x16x16_f16 a[116:119], a[106:107], v[82:83], a[116:119]// 000000007434: D3CD8074 0DD2A56A
	buffer_atomic_pk_add_f16 v158, v9, s[32:35], 0 idxen       // 00000000743C: E1382000 80089E09
	v_mfma_f32_16x16x16_f16 a[120:123], a[108:109], v[82:83], a[120:123]// 000000007444: D3CD8078 0DE2A56C
	ds_read_b128 v[72:75], v19 offset:23168                    // 00000000744C: D9FE5A80 48000013
	v_mfma_f32_16x16x16_f16 a[124:127], a[110:111], v[82:83], a[124:127]// 000000007454: D3CD807C 0DF2A56E
	v_mfma_f32_16x16x16_f16 a[128:131], a[104:105], v[84:85], a[128:131]// 00000000745C: D3CD8080 0E02A968
	ds_write_b32 v15, v104 offset:13056                        // 000000007464: D81A3300 0000680F
	v_mfma_f32_16x16x16_f16 a[132:135], a[106:107], v[84:85], a[132:135]// 00000000746C: D3CD8084 0E12A96A
	v_mfma_f32_16x16x16_f16 a[136:139], a[108:109], v[84:85], a[136:139]// 000000007474: D3CD8088 0E22A96C
	ds_write_b32 v15, v105 offset:14112                        // 00000000747C: D81A3720 0000690F
	v_mfma_f32_16x16x16_f16 a[140:143], a[110:111], v[84:85], a[140:143]// 000000007484: D3CD808C 0E32A96E
	buffer_atomic_pk_add_f16 v159, v10, s[32:35], 0 idxen      // 00000000748C: E1382000 80089F0A
	v_mfma_f32_16x16x16_f16 a[144:147], a[104:105], v[86:87], a[144:147]// 000000007494: D3CD8090 0E42AD68
	ds_write_b32 v15, v106 offset:15232                        // 00000000749C: D81A3B80 00006A0F
	v_mfma_f32_16x16x16_f16 a[148:151], a[106:107], v[86:87], a[148:151]// 0000000074A4: D3CD8094 0E52AD6A
	v_mfma_f32_16x16x16_f16 a[152:155], a[108:109], v[86:87], a[152:155]// 0000000074AC: D3CD8098 0E62AD6C
	ds_write_b32 v15, v107 offset:16288                        // 0000000074B4: D81A3FA0 00006B0F
	v_mfma_f32_16x16x16_f16 a[156:159], a[110:111], v[86:87], a[156:159]// 0000000074BC: D3CD809C 0E72AD6E
	s_waitcnt vmcnt(4) lgkmcnt(4)                              // 0000000074C4: BF8C0474
	s_barrier                                                  // 0000000074C8: BF8A0000
	v_mfma_f32_16x16x16_f16 v[148:151], a[24:25], v[52:53], 0  // 0000000074CC: D3CD0094 0A026918
	ds_read_b128 a[96:99], v12                                 // 0000000074D4: DBFE0000 6000000C
	buffer_load_dword v40, v1, s[8:11], 0 idxen                // 0000000074DC: E0502000 80022801
	v_mfma_f32_16x16x16_f16 v[148:151], a[28:29], v[54:55], v[148:151]// 0000000074E4: D3CD0094 0E526D1C
	v_mul_f32_e32 v140, s49, v140                              // 0000000074EC: 0B191831
	v_mul_f32_e32 v144, s49, v144                              // 0000000074F0: 0B212031
	s_nop 0                                                    // 0000000074F4: BF800000
	v_mfma_f32_16x16x16_f16 v[148:151], a[32:33], v[56:57], v[148:151]// 0000000074F8: D3CD0094 0E527120
	ds_read_b128 a[100:103], v12 offset:512                    // 000000007500: DBFE0200 6400000C
	buffer_load_dword v41, v2, s[8:11], 0 idxen                // 000000007508: E0502000 80022902
	v_mfma_f32_16x16x16_f16 v[148:151], a[36:37], v[58:59], v[148:151]// 000000007510: D3CD0094 0E527524
	v_mfma_f32_16x16x16_f16 v[148:151], a[40:41], v[60:61], v[148:151]// 000000007518: D3CD0094 0E527928
	ds_read_b128 a[104:107], v12 offset:2176                   // 000000007520: DBFE0880 6800000C
	buffer_load_dword v42, v3, s[8:11], 0 idxen                // 000000007528: E0502000 80022A03
	v_mfma_f32_16x16x16_f16 v[148:151], a[44:45], v[62:63], v[148:151]// 000000007530: D3CD0094 0E527D2C
	v_perm_b32 v100, v37, v36, s63                             // 000000007538: D1ED0064 00FE4925
	v_perm_b32 v101, v37, v36, s64                             // 000000007540: D1ED0065 01024925
	v_mfma_f32_16x16x16_f16 v[148:151], a[48:49], v[64:65], v[148:151]// 000000007548: D3CD0094 0E528130
	ds_read_b128 a[108:111], v12 offset:2688                   // 000000007550: DBFE0A80 6C00000C
	buffer_load_dword v43, v4, s[8:11], 0 idxen                // 000000007558: E0502000 80022B04
	v_mfma_f32_16x16x16_f16 v[148:151], a[52:53], v[66:67], v[148:151]// 000000007560: D3CD0094 0E528534
	v_perm_b32 v102, v39, v38, s63                             // 000000007568: D1ED0066 00FE4D27
	v_perm_b32 v103, v39, v38, s64                             // 000000007570: D1ED0067 01024D27
	v_mfma_f32_16x16x16_f16 v[148:151], a[56:57], v[68:69], v[148:151]// 000000007578: D3CD0094 0E528938
	ds_read_b128 v[108:111], v12 offset:8704                   // 000000007580: D9FE2200 6C00000C
	buffer_load_dword v48, v1, s[20:23], 0 idxen               // 000000007588: E0502000 80053001
	v_mfma_f32_16x16x16_f16 v[148:151], a[60:61], v[70:71], v[148:151]// 000000007590: D3CD0094 0E528D3C
	v_perm_b32 v104, v45, v44, s63                             // 000000007598: D1ED0068 00FE592D
	v_perm_b32 v105, v45, v44, s64                             // 0000000075A0: D1ED0069 0102592D
	v_mfma_f32_16x16x16_f16 v[148:151], a[64:65], v[72:73], v[148:151]// 0000000075A8: D3CD0094 0E529140
	ds_read_b128 v[112:115], v12 offset:9216                   // 0000000075B0: D9FE2400 7000000C
	buffer_load_dword v49, v2, s[20:23], 0 idxen               // 0000000075B8: E0502000 80053102
	v_mfma_f32_16x16x16_f16 v[148:151], a[68:69], v[74:75], v[148:151]// 0000000075C0: D3CD0094 0E529544
	v_perm_b32 v106, v47, v46, s63                             // 0000000075C8: D1ED006A 00FE5D2F
	v_perm_b32 v107, v47, v46, s64                             // 0000000075D0: D1ED006B 01025D2F
	v_mfma_f32_16x16x16_f16 v[152:155], a[26:27], v[52:53], 0  // 0000000075D8: D3CD0098 0A02691A
	ds_read_b128 v[116:119], v12 offset:10880                  // 0000000075E0: D9FE2A80 7400000C
	buffer_load_dword v50, v3, s[20:23], 0 idxen               // 0000000075E8: E0502000 80053203
	v_mfma_f32_16x16x16_f16 v[152:155], a[30:31], v[54:55], v[152:155]// 0000000075F0: D3CD0098 0E626D1E
	v_mov_b32_dpp v143, v140 quad_perm:[3,3,3,3] row_mask:0xf bank_mask:0xf// 0000000075F8: 7F1E02FA FF00FF8C
	v_mov_b32_dpp v142, v140 quad_perm:[2,2,2,2] row_mask:0xf bank_mask:0xf// 000000007600: 7F1C02FA FF00AA8C
	v_mov_b32_dpp v141, v140 quad_perm:[1,1,1,1] row_mask:0xf bank_mask:0xf// 000000007608: 7F1A02FA FF00558C
	v_mov_b32_dpp v140, v140 quad_perm:[0,0,0,0] row_mask:0xf bank_mask:0xf// 000000007610: 7F1802FA FF00008C
	v_mfma_f32_16x16x16_f16 v[152:155], a[34:35], v[56:57], v[152:155]// 000000007618: D3CD0098 0E627122
	ds_read_b128 v[120:123], v12 offset:11392                  // 000000007620: D9FE2C80 7800000C
	buffer_load_dword v51, v4, s[20:23], 0 idxen               // 000000007628: E0502000 80053304
	v_mfma_f32_16x16x16_f16 v[152:155], a[38:39], v[58:59], v[152:155]// 000000007630: D3CD0098 0E627526
	v_mov_b32_dpp v147, v144 quad_perm:[3,3,3,3] row_mask:0xf bank_mask:0xf// 000000007638: 7F2602FA FF00FF90
	v_mov_b32_dpp v146, v144 quad_perm:[2,2,2,2] row_mask:0xf bank_mask:0xf// 000000007640: 7F2402FA FF00AA90
	v_mov_b32_dpp v145, v144 quad_perm:[1,1,1,1] row_mask:0xf bank_mask:0xf// 000000007648: 7F2202FA FF005590
	v_mov_b32_dpp v144, v144 quad_perm:[0,0,0,0] row_mask:0xf bank_mask:0xf// 000000007650: 7F2002FA FF000090
	s_add_u32 s60, 0x80, s59                                   // 000000007658: 803C3BFF 00000080
	v_mfma_f32_16x16x16_f16 v[152:155], a[42:43], v[60:61], v[152:155]// 000000007660: D3CD0098 0E62792A
	buffer_load_dword v11, s[24:27], 0 idxen lds               // 000000007668: E0512000 8006000B
	v_mfma_f32_16x16x16_f16 v[152:155], a[46:47], v[62:63], v[152:155]// 000000007670: D3CD0098 0E627D2E
	s_cmp_lt_u32 s60, s58                                      // 000000007678: BF0A3A3C
	s_cselect_b32 s68, s68, 0                                  // 00000000767C: 85448044
	s_cselect_b32 s69, s69, 0                                  // 000000007680: 85458045
	v_mfma_f32_16x16x16_f16 v[152:155], a[50:51], v[64:65], v[152:155]// 000000007684: D3CD0098 0E628132
	s_add_u32 s8, s68, s8                                      // 00000000768C: 80080844
	s_addc_u32 s9, 0, s9                                       // 000000007690: 82090980
	v_mfma_f32_16x16x16_f16 v[152:155], a[54:55], v[66:67], v[152:155]// 000000007694: D3CD0098 0E628536
	s_add_u32 s20, s68, s20                                    // 00000000769C: 80141444
	s_addc_u32 s21, 0, s21                                     // 0000000076A0: 82151580
	v_mfma_f32_16x16x16_f16 v[152:155], a[58:59], v[68:69], v[152:155]// 0000000076A4: D3CD0098 0E62893A
	s_mov_b32 m0, s74                                          // 0000000076AC: BEFC004A
	v_add_u32_e32 v11, s69, v11                                // 0000000076B0: 68161645
	v_mfma_f32_16x16x16_f16 v[152:155], a[62:63], v[70:71], v[152:155]// 0000000076B4: D3CD0098 0E628D3E
	s_cmp_ge_u32 s59, 32                                       // 0000000076BC: BF09A03B
	s_cselect_b32 s66, s67, s66                                // 0000000076C0: 85424243
	v_mfma_f32_16x16x16_f16 v[152:155], a[66:67], v[72:73], v[152:155]// 0000000076C4: D3CD0098 0E629142
	s_addk_i32 s59, 0x20                                       // 0000000076CC: B73B0020
	s_nop 0                                                    // 0000000076D0: BF800000
	s_cmp_lt_i32 s59, s58                                      // 0000000076D4: BF043A3B
	v_mfma_f32_16x16x16_f16 v[152:155], a[70:71], v[74:75], v[152:155]// 0000000076D8: D3CD0098 0E629546
	s_cbranch_scc0 label_0B57                                  // 0000000076E0: BF84FD1E
	s_waitcnt lgkmcnt(4)                                       // 0000000076E4: BF8CC47F
	s_barrier                                                  // 0000000076E8: BF8A0000
	v_mfma_f32_16x16x16_f16 v[52:55], a[96:97], a[0:1], 0      // 0000000076EC: D3CD0034 1A020160
	v_mul_f32_e32 v148, s48, v148                              // 0000000076F4: 0B292830
	v_mul_f32_e32 v149, s48, v149                              // 0000000076F8: 0B2B2A30
	v_mfma_f32_16x16x16_f16 v[52:55], a[98:99], a[2:3], v[52:55]// 0000000076FC: D3CD0034 1CD20562
	ds_write_b32 v13, v44 offset:8704                          // 000000007704: D81A2200 00002C0D
	ds_write_b32 v13, v45 offset:9760                          // 00000000770C: D81A2620 00002D0D
	v_mfma_f32_16x16x16_f16 v[52:55], a[100:101], a[4:5], v[52:55]// 000000007714: D3CD0034 1CD20964
	v_mul_f32_e32 v150, s48, v150                              // 00000000771C: 0B2D2C30
	v_mul_f32_e32 v151, s48, v151                              // 000000007720: 0B2F2E30
	v_mfma_f32_16x16x16_f16 v[52:55], a[102:103], a[6:7], v[52:55]// 000000007724: D3CD0034 1CD20D66
	ds_write_b32 v13, v46 offset:10880                         // 00000000772C: D81A2A80 00002E0D
	ds_write_b32 v13, v47 offset:11936                         // 000000007734: D81A2EA0 00002F0D
	v_mfma_f32_16x16x16_f16 v[56:59], a[96:97], a[8:9], 0      // 00000000773C: D3CD0038 1A021160
	v_mul_f32_e32 v152, s48, v152                              // 000000007744: 0B313030
	v_mul_f32_e32 v153, s48, v153                              // 000000007748: 0B333230
	v_mfma_f32_16x16x16_f16 v[56:59], a[98:99], a[10:11], v[56:59]// 00000000774C: D3CD0038 1CE21562
	v_mul_f32_e32 v154, s48, v154                              // 000000007754: 0B353430
	v_mul_f32_e32 v155, s48, v155                              // 000000007758: 0B373630
	v_mfma_f32_16x16x16_f16 v[56:59], a[100:101], a[12:13], v[56:59]// 00000000775C: D3CD0038 1CE21964
	v_cvt_pkrtz_f16_f32 v148, v148, v149                       // 000000007764: D2960094 00032B94
	v_cvt_pkrtz_f16_f32 v149, v150, v151                       // 00000000776C: D2960095 00032F96
	v_mfma_f32_16x16x16_f16 v[56:59], a[102:103], a[14:15], v[56:59]// 000000007774: D3CD0038 1CE21D66
	v_cvt_pkrtz_f16_f32 v150, v152, v153                       // 00000000777C: D2960096 00033398
	v_cvt_pkrtz_f16_f32 v151, v154, v155                       // 000000007784: D2960097 0003379A
	v_mfma_f32_16x16x16_f16 v[60:63], a[96:97], a[16:17], 0    // 00000000778C: D3CD003C 1A022160
	v_mfma_f32_16x16x16_f16 v[60:63], a[98:99], a[18:19], v[60:63]// 000000007794: D3CD003C 1CF22562
	ds_write_b64 v22, v[148:149] offset:31232                  // 00000000779C: D89A7A00 00009416
	v_mfma_f32_16x16x16_f16 v[60:63], a[100:101], a[20:21], v[60:63]// 0000000077A4: D3CD003C 1CF22964
	v_mfma_f32_16x16x16_f16 v[60:63], a[102:103], a[22:23], v[60:63]// 0000000077AC: D3CD003C 1CF22D66
	ds_write_b64 v22, v[150:151] offset:31776                  // 0000000077B4: D89A7C20 00009616
	v_mfma_f32_16x16x16_f16 v[64:67], a[104:105], a[0:1], 0    // 0000000077BC: D3CD0040 1A020168
	v_mfma_f32_16x16x16_f16 v[64:67], a[106:107], a[2:3], v[64:67]// 0000000077C4: D3CD0040 1D02056A
	ds_read_b128 v[124:127], v14 offset:13056                  // 0000000077CC: D9FE3300 7C00000E
	ds_write_b32 v13, v36                                      // 0000000077D4: D81A0000 0000240D
	v_mfma_f32_16x16x16_f16 v[64:67], a[108:109], a[4:5], v[64:67]// 0000000077DC: D3CD0040 1D02096C
	v_mfma_f32_16x16x16_f16 v[64:67], a[110:111], a[6:7], v[64:67]// 0000000077E4: D3CD0040 1D020D6E
	v_mfma_f32_16x16x16_f16 v[68:71], a[104:105], a[8:9], 0    // 0000000077EC: D3CD0044 1A021168
	ds_read_b128 v[128:131], v14 offset:13568                  // 0000000077F4: D9FE3500 8000000E
	ds_write_b32 v13, v37 offset:1056                          // 0000000077FC: D81A0420 0000250D
	v_mfma_f32_16x16x16_f16 v[68:71], a[106:107], a[10:11], v[68:71]// 000000007804: D3CD0044 1D12156A
	v_mfma_f32_16x16x16_f16 v[68:71], a[108:109], a[12:13], v[68:71]// 00000000780C: D3CD0044 1D12196C
	v_mfma_f32_16x16x16_f16 v[68:71], a[110:111], a[14:15], v[68:71]// 000000007814: D3CD0044 1D121D6E
	ds_read_b128 v[132:135], v14 offset:15232                  // 00000000781C: D9FE3B80 8400000E
	ds_write_b32 v13, v38 offset:2176                          // 000000007824: D81A0880 0000260D
	v_mfma_f32_16x16x16_f16 v[72:75], a[104:105], a[16:17], 0  // 00000000782C: D3CD0048 1A022168
	v_mfma_f32_16x16x16_f16 v[72:75], a[106:107], a[18:19], v[72:75]// 000000007834: D3CD0048 1D22256A
	v_mfma_f32_16x16x16_f16 v[72:75], a[108:109], a[20:21], v[72:75]// 00000000783C: D3CD0048 1D22296C
	ds_read_b128 v[136:139], v14 offset:15744                  // 000000007844: D9FE3D80 8800000E
	ds_write_b32 v13, v39 offset:3232                          // 00000000784C: D81A0CA0 0000270D
	v_mfma_f32_16x16x16_f16 v[72:75], a[110:111], a[22:23], v[72:75]// 000000007854: D3CD0048 1D222D6E
	s_cmp_lt_i32 s73, 3                                        // 00000000785C: BF048349
	s_cbranch_scc0 label_0EB0                                  // 000000007860: BF840017
	s_cmp_eq_i32 s73, 1                                        // 000000007864: BF008149
	s_cbranch_scc1 label_0E9E                                  // 000000007868: BF850003
	s_cmp_eq_i32 s73, 2                                        // 00000000786C: BF008249
	s_cbranch_scc1 label_0EA7                                  // 000000007870: BF85000A
	s_branch label_0EB0                                        // 000000007874: BF820012

0000000000007878 <label_0E9E>:
	v_mov_b32_e32 v56, v226                                    // 000000007878: 7E7003E2
	v_mov_b32_e32 v68, v226                                    // 00000000787C: 7E8803E2
	v_mov_b32_e32 v57, v226                                    // 000000007880: 7E7203E2
	v_mov_b32_e32 v69, v226                                    // 000000007884: 7E8A03E2
	v_mov_b32_e32 v58, v226                                    // 000000007888: 7E7403E2
	v_mov_b32_e32 v70, v226                                    // 00000000788C: 7E8C03E2
	v_mov_b32_e32 v59, v226                                    // 000000007890: 7E7603E2
	v_mov_b32_e32 v71, v226                                    // 000000007894: 7E8E03E2
	s_branch label_0EA7                                        // 000000007898: BF820000

000000000000789c <label_0EA7>:
	v_mov_b32_e32 v60, v226                                    // 00000000789C: 7E7803E2
	v_mov_b32_e32 v72, v226                                    // 0000000078A0: 7E9003E2
	v_mov_b32_e32 v61, v226                                    // 0000000078A4: 7E7A03E2
	v_mov_b32_e32 v73, v226                                    // 0000000078A8: 7E9203E2
	v_mov_b32_e32 v62, v226                                    // 0000000078AC: 7E7C03E2
	v_mov_b32_e32 v74, v226                                    // 0000000078B0: 7E9403E2
	v_mov_b32_e32 v63, v226                                    // 0000000078B4: 7E7E03E2
	v_mov_b32_e32 v75, v226                                    // 0000000078B8: 7E9603E2
	s_branch label_0EB0                                        // 0000000078BC: BF820000

00000000000078c0 <label_0EB0>:
	s_waitcnt lgkmcnt(8)                                       // 0000000078C0: BF8CC87F
	s_barrier                                                  // 0000000078C4: BF8A0000
	v_mfma_f32_16x16x16_f16 v[76:79], v[108:109], a[72:73], 0  // 0000000078C8: D3CD004C 1202916C
	v_fma_f32 v52, v52, s57, -v140                             // 0000000078D0: D1CB0034 86307334
	v_fma_f32 v53, v53, s57, -v141                             // 0000000078D8: D1CB0035 86347335
	v_fma_f32 v54, v54, s57, -v142                             // 0000000078E0: D1CB0036 86387336
	v_fma_f32 v55, v55, s57, -v143                             // 0000000078E8: D1CB0037 863C7337
	v_fma_f32 v56, v56, s57, -v140                             // 0000000078F0: D1CB0038 86307338
	v_fma_f32 v57, v57, s57, -v141                             // 0000000078F8: D1CB0039 86347339
	v_mfma_f32_16x16x16_f16 v[76:79], v[110:111], a[74:75], v[76:79]// 000000007900: D3CD004C 1532956E
	ds_read_b128 a[96:99], v14 offset:4352                     // 000000007908: DBFE1100 6000000E
	ds_read_b128 a[100:103], v14 offset:4864                   // 000000007910: DBFE1300 6400000E
	v_mfma_f32_16x16x16_f16 v[76:79], v[112:113], a[76:77], v[76:79]// 000000007918: D3CD004C 15329970
	v_fma_f32 v58, v58, s57, -v142                             // 000000007920: D1CB003A 8638733A
	v_fma_f32 v59, v59, s57, -v143                             // 000000007928: D1CB003B 863C733B
	v_fma_f32 v60, v60, s57, -v140                             // 000000007930: D1CB003C 8630733C
	v_fma_f32 v61, v61, s57, -v141                             // 000000007938: D1CB003D 8634733D
	v_fma_f32 v62, v62, s57, -v142                             // 000000007940: D1CB003E 8638733E
	v_fma_f32 v63, v63, s57, -v143                             // 000000007948: D1CB003F 863C733F
	v_mfma_f32_16x16x16_f16 v[76:79], v[114:115], a[78:79], v[76:79]// 000000007950: D3CD004C 15329D72
	v_fma_f32 v64, v64, s57, -v144                             // 000000007958: D1CB0040 86407340
	v_fma_f32 v65, v65, s57, -v145                             // 000000007960: D1CB0041 86447341
	v_fma_f32 v66, v66, s57, -v146                             // 000000007968: D1CB0042 86487342
	v_fma_f32 v67, v67, s57, -v147                             // 000000007970: D1CB0043 864C7343
	v_fma_f32 v68, v68, s57, -v144                             // 000000007978: D1CB0044 86407344
	v_fma_f32 v69, v69, s57, -v145                             // 000000007980: D1CB0045 86447345
	v_mfma_f32_16x16x16_f16 v[80:83], v[108:109], a[80:81], 0  // 000000007988: D3CD0050 1202A16C
	v_fma_f32 v70, v70, s57, -v146                             // 000000007990: D1CB0046 86487346
	v_fma_f32 v71, v71, s57, -v147                             // 000000007998: D1CB0047 864C7347
	v_fma_f32 v72, v72, s57, -v144                             // 0000000079A0: D1CB0048 86407348
	v_fma_f32 v73, v73, s57, -v145                             // 0000000079A8: D1CB0049 86447349
	v_fma_f32 v74, v74, s57, -v146                             // 0000000079B0: D1CB004A 8648734A
	v_fma_f32 v75, v75, s57, -v147                             // 0000000079B8: D1CB004B 864C734B
	v_mfma_f32_16x16x16_f16 v[80:83], v[110:111], a[82:83], v[80:83]// 0000000079C0: D3CD0050 1542A56E
	ds_read_b128 a[104:107], v14 offset:6528                   // 0000000079C8: DBFE1980 6800000E
	ds_read_b128 a[108:111], v14 offset:7040                   // 0000000079D0: DBFE1B80 6C00000E
	v_mfma_f32_16x16x16_f16 v[80:83], v[112:113], a[84:85], v[80:83]// 0000000079D8: D3CD0050 1542A970
	v_exp_f32_e32 v52, v52                                     // 0000000079E0: 7E684134
	v_exp_f32_e32 v53, v53                                     // 0000000079E4: 7E6A4135
	v_mfma_f32_16x16x16_f16 v[80:83], v[114:115], a[86:87], v[80:83]// 0000000079E8: D3CD0050 1542AD72
	v_exp_f32_e32 v54, v54                                     // 0000000079F0: 7E6C4136
	v_exp_f32_e32 v55, v55                                     // 0000000079F4: 7E6E4137
	v_mfma_f32_16x16x16_f16 v[84:87], v[108:109], a[88:89], 0  // 0000000079F8: D3CD0054 1202B16C
	v_exp_f32_e32 v56, v56                                     // 000000007A00: 7E704138
	v_exp_f32_e32 v57, v57                                     // 000000007A04: 7E724139
	v_mfma_f32_16x16x16_f16 v[84:87], v[110:111], a[90:91], v[84:87]// 000000007A08: D3CD0054 1552B56E
	ds_read_b32 v156, v21 offset:31232                         // 000000007A10: D86C7A00 9C000015
	ds_read_b32 v157, v21 offset:31248                         // 000000007A18: D86C7A10 9D000015
	v_mfma_f32_16x16x16_f16 v[84:87], v[112:113], a[92:93], v[84:87]// 000000007A20: D3CD0054 1552B970
	v_exp_f32_e32 v58, v58                                     // 000000007A28: 7E74413A
	v_exp_f32_e32 v59, v59                                     // 000000007A2C: 7E76413B
	v_mfma_f32_16x16x16_f16 v[84:87], v[114:115], a[94:95], v[84:87]// 000000007A30: D3CD0054 1552BD72
	ds_read_b32 v158, v21 offset:31264                         // 000000007A38: D86C7A20 9E000015
	ds_read_b32 v159, v21 offset:31280                         // 000000007A40: D86C7A30 9F000015
	v_mfma_f32_16x16x16_f16 v[88:91], v[116:117], a[72:73], 0  // 000000007A48: D3CD0058 12029174
	v_exp_f32_e32 v60, v60                                     // 000000007A50: 7E78413C
	v_exp_f32_e32 v61, v61                                     // 000000007A54: 7E7A413D
	v_mfma_f32_16x16x16_f16 v[88:91], v[118:119], a[74:75], v[88:91]// 000000007A58: D3CD0058 15629576
	v_exp_f32_e32 v62, v62                                     // 000000007A60: 7E7C413E
	v_exp_f32_e32 v63, v63                                     // 000000007A64: 7E7E413F
	v_mfma_f32_16x16x16_f16 v[88:91], v[120:121], a[76:77], v[88:91]// 000000007A68: D3CD0058 15629978
	v_exp_f32_e32 v64, v64                                     // 000000007A70: 7E804140
	v_exp_f32_e32 v65, v65                                     // 000000007A74: 7E824141
	v_mfma_f32_16x16x16_f16 v[88:91], v[122:123], a[78:79], v[88:91]// 000000007A78: D3CD0058 15629D7A
	v_exp_f32_e32 v66, v66                                     // 000000007A80: 7E844142
	v_exp_f32_e32 v67, v67                                     // 000000007A84: 7E864143
	v_mfma_f32_16x16x16_f16 v[92:95], v[116:117], a[80:81], 0  // 000000007A88: D3CD005C 1202A174
	v_exp_f32_e32 v68, v68                                     // 000000007A90: 7E884144
	v_exp_f32_e32 v69, v69                                     // 000000007A94: 7E8A4145
	v_mfma_f32_16x16x16_f16 v[92:95], v[118:119], a[82:83], v[92:95]// 000000007A98: D3CD005C 1572A576
	v_exp_f32_e32 v70, v70                                     // 000000007AA0: 7E8C4146
	v_exp_f32_e32 v71, v71                                     // 000000007AA4: 7E8E4147
	v_mfma_f32_16x16x16_f16 v[92:95], v[120:121], a[84:85], v[92:95]// 000000007AA8: D3CD005C 1572A978
	v_exp_f32_e32 v72, v72                                     // 000000007AB0: 7E904148
	v_exp_f32_e32 v73, v73                                     // 000000007AB4: 7E924149
	v_mfma_f32_16x16x16_f16 v[92:95], v[122:123], a[86:87], v[92:95]// 000000007AB8: D3CD005C 1572AD7A
	v_exp_f32_e32 v74, v74                                     // 000000007AC0: 7E94414A
	v_exp_f32_e32 v75, v75                                     // 000000007AC4: 7E96414B
	v_mfma_f32_16x16x16_f16 v[96:99], v[116:117], a[88:89], 0  // 000000007AC8: D3CD0060 1202B174
	v_cvt_pkrtz_f16_f32 v164, v52, v53                         // 000000007AD0: D29600A4 00026B34
	v_cvt_pkrtz_f16_f32 v165, v54, v55                         // 000000007AD8: D29600A5 00026F36
	v_cvt_pkrtz_f16_f32 v166, v56, v57                         // 000000007AE0: D29600A6 00027338
	v_cvt_pkrtz_f16_f32 v167, v58, v59                         // 000000007AE8: D29600A7 0002773A
	v_cvt_pkrtz_f16_f32 v168, v60, v61                         // 000000007AF0: D29600A8 00027B3C
	v_cvt_pkrtz_f16_f32 v169, v62, v63                         // 000000007AF8: D29600A9 00027F3E
	v_mfma_f32_16x16x16_f16 v[96:99], v[118:119], a[90:91], v[96:99]// 000000007B00: D3CD0060 1582B576
	v_cvt_pkrtz_f16_f32 v170, v64, v65                         // 000000007B08: D29600AA 00028340
	v_cvt_pkrtz_f16_f32 v171, v66, v67                         // 000000007B10: D29600AB 00028742
	v_cvt_pkrtz_f16_f32 v172, v68, v69                         // 000000007B18: D29600AC 00028B44
	v_cvt_pkrtz_f16_f32 v173, v70, v71                         // 000000007B20: D29600AD 00028F46
	v_cvt_pkrtz_f16_f32 v174, v72, v73                         // 000000007B28: D29600AE 00029348
	v_cvt_pkrtz_f16_f32 v175, v74, v75                         // 000000007B30: D29600AF 0002974A
	v_mfma_f32_16x16x16_f16 v[96:99], v[120:121], a[92:93], v[96:99]// 000000007B38: D3CD0060 1582B978
	s_add_u32 s32, s66, s32                                    // 000000007B40: 80202042
	s_addc_u32 s33, 0, s33                                     // 000000007B44: 82212180
	v_mfma_f32_16x16x16_f16 v[96:99], v[122:123], a[94:95], v[96:99]// 000000007B48: D3CD0060 1582BD7A
	s_waitcnt lgkmcnt(0)                                       // 000000007B50: BF8CC07F
	s_barrier                                                  // 000000007B54: BF8A0000
	v_mfma_f32_16x16x16_f16 v[178:181], v[124:125], v[164:165], v[178:181]// 000000007B58: D3CD00B2 06CB497C
	v_subrev_f32_dpp v76, v176, v76 quad_perm:[0,0,0,0] row_mask:0xf bank_mask:0xf// 000000007B60: 069898FA FF0000B0
	v_subrev_f32_dpp v77, v176, v77 quad_perm:[1,1,1,1] row_mask:0xf bank_mask:0xf// 000000007B68: 069A9AFA FF0055B0
	v_subrev_f32_dpp v78, v176, v78 quad_perm:[2,2,2,2] row_mask:0xf bank_mask:0xf// 000000007B70: 069C9CFA FF00AAB0
	v_subrev_f32_dpp v79, v176, v79 quad_perm:[3,3,3,3] row_mask:0xf bank_mask:0xf// 000000007B78: 069E9EFA FF00FFB0
	v_subrev_f32_dpp v80, v176, v80 quad_perm:[0,0,0,0] row_mask:0xf bank_mask:0xf// 000000007B80: 06A0A0FA FF0000B0
	v_subrev_f32_dpp v81, v176, v81 quad_perm:[1,1,1,1] row_mask:0xf bank_mask:0xf// 000000007B88: 06A2A2FA FF0055B0
	v_mfma_f32_16x16x16_f16 v[182:185], v[126:127], v[164:165], v[182:185]// 000000007B90: D3CD00B6 06DB497E
	v_subrev_f32_dpp v82, v176, v82 quad_perm:[2,2,2,2] row_mask:0xf bank_mask:0xf// 000000007B98: 06A4A4FA FF00AAB0
	v_subrev_f32_dpp v83, v176, v83 quad_perm:[3,3,3,3] row_mask:0xf bank_mask:0xf// 000000007BA0: 06A6A6FA FF00FFB0
	v_subrev_f32_dpp v84, v176, v84 quad_perm:[0,0,0,0] row_mask:0xf bank_mask:0xf// 000000007BA8: 06A8A8FA FF0000B0
	v_subrev_f32_dpp v85, v176, v85 quad_perm:[1,1,1,1] row_mask:0xf bank_mask:0xf// 000000007BB0: 06AAAAFA FF0055B0
	v_subrev_f32_dpp v86, v176, v86 quad_perm:[2,2,2,2] row_mask:0xf bank_mask:0xf// 000000007BB8: 06ACACFA FF00AAB0
	v_subrev_f32_dpp v87, v176, v87 quad_perm:[3,3,3,3] row_mask:0xf bank_mask:0xf// 000000007BC0: 06AEAEFA FF00FFB0
	v_mfma_f32_16x16x16_f16 v[186:189], v[128:129], v[164:165], v[186:189]// 000000007BC8: D3CD00BA 06EB4980
	v_mul_f32_e32 v76, v52, v76                                // 000000007BD0: 0A989934
	v_mul_f32_e32 v77, v53, v77                                // 000000007BD4: 0A9A9B35
	v_mul_f32_e32 v78, v54, v78                                // 000000007BD8: 0A9C9D36
	v_mul_f32_e32 v79, v55, v79                                // 000000007BDC: 0A9E9F37
	v_mul_f32_e32 v80, v56, v80                                // 000000007BE0: 0AA0A138
	v_mul_f32_e32 v81, v57, v81                                // 000000007BE4: 0AA2A339
	v_mfma_f32_16x16x16_f16 v[190:193], v[130:131], v[164:165], v[190:193]// 000000007BE8: D3CD00BE 06FB4982
	v_mul_f32_e32 v82, v58, v82                                // 000000007BF0: 0AA4A53A
	v_mul_f32_e32 v83, v59, v83                                // 000000007BF4: 0AA6A73B
	v_mul_f32_e32 v84, v60, v84                                // 000000007BF8: 0AA8A93C
	v_mul_f32_e32 v85, v61, v85                                // 000000007BFC: 0AAAAB3D
	v_mul_f32_e32 v86, v62, v86                                // 000000007C00: 0AACAD3E
	v_mul_f32_e32 v87, v63, v87                                // 000000007C04: 0AAEAF3F
	v_mfma_f32_16x16x16_f16 v[194:197], v[124:125], v[166:167], v[194:197]// 000000007C08: D3CD00C2 070B4D7C
	v_cvt_pkrtz_f16_f32 v76, v76, v77                          // 000000007C10: D296004C 00029B4C
	v_cvt_pkrtz_f16_f32 v77, v78, v79                          // 000000007C18: D296004D 00029F4E
	v_cvt_pkrtz_f16_f32 v78, v80, v81                          // 000000007C20: D296004E 0002A350
	v_cvt_pkrtz_f16_f32 v79, v82, v83                          // 000000007C28: D296004F 0002A752
	v_cvt_pkrtz_f16_f32 v80, v84, v85                          // 000000007C30: D2960050 0002AB54
	v_cvt_pkrtz_f16_f32 v81, v86, v87                          // 000000007C38: D2960051 0002AF56
	v_mfma_f32_16x16x16_f16 v[198:201], v[126:127], v[166:167], v[198:201]// 000000007C40: D3CD00C6 071B4D7E
	v_mov_b32_dpp v18, v76 quad_perm:[1,0,3,2] row_mask:0xf bank_mask:0xf// 000000007C48: 7E2402FA FF00B14C
	v_perm_b32 v52, v18, v76, v17                              // 000000007C50: D1ED0034 04469912
	v_mov_b32_dpp v18, v77 quad_perm:[1,0,3,2] row_mask:0xf bank_mask:0xf// 000000007C58: 7E2402FA FF00B14D
	v_perm_b32 v53, v18, v77, v17                              // 000000007C60: D1ED0035 04469B12
	v_mov_b32_dpp v18, v78 quad_perm:[1,0,3,2] row_mask:0xf bank_mask:0xf// 000000007C68: 7E2402FA FF00B14E
	v_perm_b32 v54, v18, v78, v17                              // 000000007C70: D1ED0036 04469D12
	v_mfma_f32_16x16x16_f16 v[202:205], v[128:129], v[166:167], v[202:205]// 000000007C78: D3CD00CA 072B4D80
	ds_write_b32 v20, v52 offset:17408                         // 000000007C80: D81A4400 00003414
	ds_write_b32 v20, v53 offset:17952                         // 000000007C88: D81A4620 00003514
	v_mfma_f32_16x16x16_f16 v[206:209], v[130:131], v[166:167], v[206:209]// 000000007C90: D3CD00CE 073B4D82
	v_mov_b32_dpp v18, v79 quad_perm:[1,0,3,2] row_mask:0xf bank_mask:0xf// 000000007C98: 7E2402FA FF00B14F
	v_perm_b32 v55, v18, v79, v17                              // 000000007CA0: D1ED0037 04469F12
	v_mov_b32_dpp v18, v80 quad_perm:[1,0,3,2] row_mask:0xf bank_mask:0xf// 000000007CA8: 7E2402FA FF00B150
	v_perm_b32 v56, v18, v80, v17                              // 000000007CB0: D1ED0038 0446A112
	v_mov_b32_dpp v18, v81 quad_perm:[1,0,3,2] row_mask:0xf bank_mask:0xf// 000000007CB8: 7E2402FA FF00B151
	v_perm_b32 v57, v18, v81, v17                              // 000000007CC0: D1ED0039 0446A312
	v_mfma_f32_16x16x16_f16 v[210:213], v[124:125], v[168:169], v[210:213]// 000000007CC8: D3CD00D2 074B517C
	ds_write_b32 v20, v54 offset:19712                         // 000000007CD0: D81A4D00 00003614
	ds_write_b32 v20, v55 offset:20256                         // 000000007CD8: D81A4F20 00003714
	v_mfma_f32_16x16x16_f16 v[214:217], v[126:127], v[168:169], v[214:217]// 000000007CE0: D3CD00D6 075B517E
	v_subrev_f32_dpp v88, v177, v88 quad_perm:[0,0,0,0] row_mask:0xf bank_mask:0xf// 000000007CE8: 06B0B0FA FF0000B1
	v_subrev_f32_dpp v89, v177, v89 quad_perm:[1,1,1,1] row_mask:0xf bank_mask:0xf// 000000007CF0: 06B2B2FA FF0055B1
	v_subrev_f32_dpp v90, v177, v90 quad_perm:[2,2,2,2] row_mask:0xf bank_mask:0xf// 000000007CF8: 06B4B4FA FF00AAB1
	v_subrev_f32_dpp v91, v177, v91 quad_perm:[3,3,3,3] row_mask:0xf bank_mask:0xf// 000000007D00: 06B6B6FA FF00FFB1
	v_subrev_f32_dpp v92, v177, v92 quad_perm:[0,0,0,0] row_mask:0xf bank_mask:0xf// 000000007D08: 06B8B8FA FF0000B1
	v_subrev_f32_dpp v93, v177, v93 quad_perm:[1,1,1,1] row_mask:0xf bank_mask:0xf// 000000007D10: 06BABAFA FF0055B1
	v_mfma_f32_16x16x16_f16 v[218:221], v[128:129], v[168:169], v[218:221]// 000000007D18: D3CD00DA 076B5180
	ds_write_b32 v20, v56 offset:22016                         // 000000007D20: D81A5600 00003814
	ds_write_b32 v20, v57 offset:22560                         // 000000007D28: D81A5820 00003914
	v_mfma_f32_16x16x16_f16 v[222:225], v[130:131], v[168:169], v[222:225]// 000000007D30: D3CD00DE 077B5182
	v_subrev_f32_dpp v94, v177, v94 quad_perm:[2,2,2,2] row_mask:0xf bank_mask:0xf// 000000007D38: 06BCBCFA FF00AAB1
	v_subrev_f32_dpp v95, v177, v95 quad_perm:[3,3,3,3] row_mask:0xf bank_mask:0xf// 000000007D40: 06BEBEFA FF00FFB1
	v_subrev_f32_dpp v96, v177, v96 quad_perm:[0,0,0,0] row_mask:0xf bank_mask:0xf// 000000007D48: 06C0C0FA FF0000B1
	v_subrev_f32_dpp v97, v177, v97 quad_perm:[1,1,1,1] row_mask:0xf bank_mask:0xf// 000000007D50: 06C2C2FA FF0055B1
	v_subrev_f32_dpp v98, v177, v98 quad_perm:[2,2,2,2] row_mask:0xf bank_mask:0xf// 000000007D58: 06C4C4FA FF00AAB1
	v_subrev_f32_dpp v99, v177, v99 quad_perm:[3,3,3,3] row_mask:0xf bank_mask:0xf// 000000007D60: 06C6C6FA FF00FFB1
	v_mfma_f32_16x16x16_f16 v[178:181], v[132:133], v[170:171], v[178:181]// 000000007D68: D3CD00B2 06CB5584
	v_mul_f32_e32 v88, v64, v88                                // 000000007D70: 0AB0B140
	v_mul_f32_e32 v89, v65, v89                                // 000000007D74: 0AB2B341
	v_mul_f32_e32 v90, v66, v90                                // 000000007D78: 0AB4B542
	v_mul_f32_e32 v91, v67, v91                                // 000000007D7C: 0AB6B743
	v_mul_f32_e32 v92, v68, v92                                // 000000007D80: 0AB8B944
	v_mul_f32_e32 v93, v69, v93                                // 000000007D84: 0ABABB45
	v_mfma_f32_16x16x16_f16 v[182:185], v[134:135], v[170:171], v[182:185]// 000000007D88: D3CD00B6 06DB5586
	v_mul_f32_e32 v94, v70, v94                                // 000000007D90: 0ABCBD46
	v_mul_f32_e32 v95, v71, v95                                // 000000007D94: 0ABEBF47
	v_mul_f32_e32 v96, v72, v96                                // 000000007D98: 0AC0C148
	v_mul_f32_e32 v97, v73, v97                                // 000000007D9C: 0AC2C349
	v_mul_f32_e32 v98, v74, v98                                // 000000007DA0: 0AC4C54A
	v_mul_f32_e32 v99, v75, v99                                // 000000007DA4: 0AC6C74B
	v_mfma_f32_16x16x16_f16 v[186:189], v[136:137], v[170:171], v[186:189]// 000000007DA8: D3CD00BA 06EB5588
	v_cvt_pkrtz_f16_f32 v82, v88, v89                          // 000000007DB0: D2960052 0002B358
	v_cvt_pkrtz_f16_f32 v83, v90, v91                          // 000000007DB8: D2960053 0002B75A
	v_cvt_pkrtz_f16_f32 v84, v92, v93                          // 000000007DC0: D2960054 0002BB5C
	v_cvt_pkrtz_f16_f32 v85, v94, v95                          // 000000007DC8: D2960055 0002BF5E
	v_cvt_pkrtz_f16_f32 v86, v96, v97                          // 000000007DD0: D2960056 0002C360
	v_cvt_pkrtz_f16_f32 v87, v98, v99                          // 000000007DD8: D2960057 0002C762
	v_mfma_f32_16x16x16_f16 v[190:193], v[138:139], v[170:171], v[190:193]// 000000007DE0: D3CD00BE 06FB558A
	v_mov_b32_dpp v18, v82 quad_perm:[1,0,3,2] row_mask:0xf bank_mask:0xf// 000000007DE8: 7E2402FA FF00B152
	v_perm_b32 v58, v18, v82, v17                              // 000000007DF0: D1ED003A 0446A512
	v_mov_b32_dpp v18, v83 quad_perm:[1,0,3,2] row_mask:0xf bank_mask:0xf// 000000007DF8: 7E2402FA FF00B153
	v_perm_b32 v59, v18, v83, v17                              // 000000007E00: D1ED003B 0446A712
	v_mov_b32_dpp v18, v84 quad_perm:[1,0,3,2] row_mask:0xf bank_mask:0xf// 000000007E08: 7E2402FA FF00B154
	v_perm_b32 v60, v18, v84, v17                              // 000000007E10: D1ED003C 0446A912
	v_mfma_f32_16x16x16_f16 v[194:197], v[132:133], v[172:173], v[194:197]// 000000007E18: D3CD00C2 070B5984
	ds_write_b32 v20, v58 offset:24320                         // 000000007E20: D81A5F00 00003A14
	ds_write_b32 v20, v59 offset:24864                         // 000000007E28: D81A6120 00003B14
	v_mfma_f32_16x16x16_f16 v[198:201], v[134:135], v[172:173], v[198:201]// 000000007E30: D3CD00C6 071B5986
	v_mov_b32_dpp v18, v85 quad_perm:[1,0,3,2] row_mask:0xf bank_mask:0xf// 000000007E38: 7E2402FA FF00B155
	v_perm_b32 v61, v18, v85, v17                              // 000000007E40: D1ED003D 0446AB12
	v_mov_b32_dpp v18, v86 quad_perm:[1,0,3,2] row_mask:0xf bank_mask:0xf// 000000007E48: 7E2402FA FF00B156
	v_perm_b32 v62, v18, v86, v17                              // 000000007E50: D1ED003E 0446AD12
	v_mov_b32_dpp v18, v87 quad_perm:[1,0,3,2] row_mask:0xf bank_mask:0xf// 000000007E58: 7E2402FA FF00B157
	v_perm_b32 v63, v18, v87, v17                              // 000000007E60: D1ED003F 0446AF12
	v_mfma_f32_16x16x16_f16 v[202:205], v[136:137], v[172:173], v[202:205]// 000000007E68: D3CD00CA 072B5988
	ds_write_b32 v20, v60 offset:26624                         // 000000007E70: D81A6800 00003C14
	ds_write_b32 v20, v61 offset:27168                         // 000000007E78: D81A6A20 00003D14
	ds_write_b32 v20, v62 offset:28928                         // 000000007E80: D81A7100 00003E14
	ds_write_b32 v20, v63 offset:29472                         // 000000007E88: D81A7320 00003F14
	v_mfma_f32_16x16x16_f16 v[206:209], v[138:139], v[172:173], v[206:209]// 000000007E90: D3CD00CE 073B598A
	v_mfma_f32_16x16x16_f16 v[210:213], v[132:133], v[174:175], v[210:213]// 000000007E98: D3CD00D2 074B5D84
	ds_write_b32 v15, v100 offset:4352                         // 000000007EA0: D81A1100 0000640F
	ds_write_b32 v15, v101 offset:5408                         // 000000007EA8: D81A1520 0000650F
	v_mfma_f32_16x16x16_f16 v[214:217], v[134:135], v[174:175], v[214:217]// 000000007EB0: D3CD00D6 075B5D86
	v_mfma_f32_16x16x16_f16 v[218:221], v[136:137], v[174:175], v[218:221]// 000000007EB8: D3CD00DA 076B5D88
	ds_write_b32 v15, v102 offset:6528                         // 000000007EC0: D81A1980 0000660F
	ds_write_b32 v15, v103 offset:7584                         // 000000007EC8: D81A1DA0 0000670F
	v_mfma_f32_16x16x16_f16 v[222:225], v[138:139], v[174:175], v[222:225]// 000000007ED0: D3CD00DE 077B5D8A
	s_nop 0                                                    // 000000007ED8: BF800000
	s_nop 0                                                    // 000000007EDC: BF800000
	s_nop 0                                                    // 000000007EE0: BF800000
	s_barrier                                                  // 000000007EE4: BF8A0000
	v_mfma_f32_16x16x16_f16 a[112:115], a[96:97], v[76:77], a[112:115]// 000000007EE8: D3CD8070 0DC29960
	ds_read_b32 v140, v23 offset:35584                         // 000000007EF0: D86C8B00 8C000017
	ds_read_b32 v144, v23 offset:35648                         // 000000007EF8: D86C8B40 90000017
	ds_read_b32 v176, v23 offset:35840                         // 000000007F00: D86C8C00 B0000017
	ds_read_b32 v177, v23 offset:35904                         // 000000007F08: D86C8C40 B1000017
	v_mfma_f32_16x16x16_f16 a[116:119], a[98:99], v[76:77], a[116:119]// 000000007F10: D3CD8074 0DD29962
	buffer_atomic_pk_add_f16 v156, v7, s[32:35], 0 idxen       // 000000007F18: E1382000 80089C07
	v_mfma_f32_16x16x16_f16 a[120:123], a[100:101], v[76:77], a[120:123]// 000000007F20: D3CD8078 0DE29964
	s_waitcnt lgkmcnt(8)                                       // 000000007F28: BF8CC87F
	s_barrier                                                  // 000000007F2C: BF8A0000
	v_mfma_f32_16x16x16_f16 a[124:127], a[102:103], v[76:77], a[124:127]// 000000007F30: D3CD807C 0DF29966
	v_mfma_f32_16x16x16_f16 a[128:131], a[96:97], v[78:79], a[128:131]// 000000007F38: D3CD8080 0E029D60
	ds_read_b128 v[52:55], v19 offset:17408                    // 000000007F40: D9FE4400 34000013
	v_mfma_f32_16x16x16_f16 a[132:135], a[98:99], v[78:79], a[132:135]// 000000007F48: D3CD8084 0E129D62
	v_mfma_f32_16x16x16_f16 a[136:139], a[100:101], v[78:79], a[136:139]// 000000007F50: D3CD8088 0E229D64
	ds_read_b128 v[56:59], v19 offset:18560                    // 000000007F58: D9FE4880 38000013
	v_mfma_f32_16x16x16_f16 a[140:143], a[102:103], v[78:79], a[140:143]// 000000007F60: D3CD808C 0E329D66
	buffer_atomic_pk_add_f16 v157, v8, s[32:35], 0 idxen       // 000000007F68: E1382000 80089D08
	v_mfma_f32_16x16x16_f16 a[144:147], a[96:97], v[80:81], a[144:147]// 000000007F70: D3CD8090 0E42A160
	ds_read_b128 v[60:63], v19 offset:19712                    // 000000007F78: D9FE4D00 3C000013
	v_mfma_f32_16x16x16_f16 a[148:151], a[98:99], v[80:81], a[148:151]// 000000007F80: D3CD8094 0E52A162
	v_mfma_f32_16x16x16_f16 a[152:155], a[100:101], v[80:81], a[152:155]// 000000007F88: D3CD8098 0E62A164
	ds_read_b128 v[64:67], v19 offset:20864                    // 000000007F90: D9FE5180 40000013
	v_mfma_f32_16x16x16_f16 a[156:159], a[102:103], v[80:81], a[156:159]// 000000007F98: D3CD809C 0E72A166
	v_mfma_f32_16x16x16_f16 a[112:115], a[104:105], v[82:83], a[112:115]// 000000007FA0: D3CD8070 0DC2A568
	ds_read_b128 v[68:71], v19 offset:22016                    // 000000007FA8: D9FE5600 44000013
	v_mfma_f32_16x16x16_f16 a[116:119], a[106:107], v[82:83], a[116:119]// 000000007FB0: D3CD8074 0DD2A56A
	buffer_atomic_pk_add_f16 v158, v9, s[32:35], 0 idxen       // 000000007FB8: E1382000 80089E09
	v_mfma_f32_16x16x16_f16 a[120:123], a[108:109], v[82:83], a[120:123]// 000000007FC0: D3CD8078 0DE2A56C
	ds_read_b128 v[72:75], v19 offset:23168                    // 000000007FC8: D9FE5A80 48000013
	v_mfma_f32_16x16x16_f16 a[124:127], a[110:111], v[82:83], a[124:127]// 000000007FD0: D3CD807C 0DF2A56E
	v_mfma_f32_16x16x16_f16 a[128:131], a[104:105], v[84:85], a[128:131]// 000000007FD8: D3CD8080 0E02A968
	ds_write_b32 v15, v104 offset:13056                        // 000000007FE0: D81A3300 0000680F
	v_mfma_f32_16x16x16_f16 a[132:135], a[106:107], v[84:85], a[132:135]// 000000007FE8: D3CD8084 0E12A96A
	v_mfma_f32_16x16x16_f16 a[136:139], a[108:109], v[84:85], a[136:139]// 000000007FF0: D3CD8088 0E22A96C
	ds_write_b32 v15, v105 offset:14112                        // 000000007FF8: D81A3720 0000690F
	v_mfma_f32_16x16x16_f16 a[140:143], a[110:111], v[84:85], a[140:143]// 000000008000: D3CD808C 0E32A96E
	buffer_atomic_pk_add_f16 v159, v10, s[32:35], 0 idxen      // 000000008008: E1382000 80089F0A
	v_mfma_f32_16x16x16_f16 a[144:147], a[104:105], v[86:87], a[144:147]// 000000008010: D3CD8090 0E42AD68
	ds_write_b32 v15, v106 offset:15232                        // 000000008018: D81A3B80 00006A0F
	v_mfma_f32_16x16x16_f16 a[148:151], a[106:107], v[86:87], a[148:151]// 000000008020: D3CD8094 0E52AD6A
	v_mfma_f32_16x16x16_f16 a[152:155], a[108:109], v[86:87], a[152:155]// 000000008028: D3CD8098 0E62AD6C
	ds_write_b32 v15, v107 offset:16288                        // 000000008030: D81A3FA0 00006B0F
	v_mfma_f32_16x16x16_f16 a[156:159], a[110:111], v[86:87], a[156:159]// 000000008038: D3CD809C 0E72AD6E
	s_waitcnt vmcnt(4) lgkmcnt(4)                              // 000000008040: BF8C0474
	s_barrier                                                  // 000000008044: BF8A0000
	v_mfma_f32_16x16x16_f16 v[148:151], a[24:25], v[52:53], 0  // 000000008048: D3CD0094 0A026918
	ds_read_b128 a[96:99], v12                                 // 000000008050: DBFE0000 6000000C
	buffer_load_dword v36, v1, s[8:11], 0 idxen                // 000000008058: E0502000 80022401
	v_mfma_f32_16x16x16_f16 v[148:151], a[28:29], v[54:55], v[148:151]// 000000008060: D3CD0094 0E526D1C
	v_mul_f32_e32 v140, s49, v140                              // 000000008068: 0B191831
	v_mul_f32_e32 v144, s49, v144                              // 00000000806C: 0B212031
	s_nop 0                                                    // 000000008070: BF800000
	v_mfma_f32_16x16x16_f16 v[148:151], a[32:33], v[56:57], v[148:151]// 000000008074: D3CD0094 0E527120
	ds_read_b128 a[100:103], v12 offset:512                    // 00000000807C: DBFE0200 6400000C
	buffer_load_dword v37, v2, s[8:11], 0 idxen                // 000000008084: E0502000 80022502
	v_mfma_f32_16x16x16_f16 v[148:151], a[36:37], v[58:59], v[148:151]// 00000000808C: D3CD0094 0E527524
	v_mfma_f32_16x16x16_f16 v[148:151], a[40:41], v[60:61], v[148:151]// 000000008094: D3CD0094 0E527928
	ds_read_b128 a[104:107], v12 offset:2176                   // 00000000809C: DBFE0880 6800000C
	buffer_load_dword v38, v3, s[8:11], 0 idxen                // 0000000080A4: E0502000 80022603
	v_mfma_f32_16x16x16_f16 v[148:151], a[44:45], v[62:63], v[148:151]// 0000000080AC: D3CD0094 0E527D2C
	v_perm_b32 v100, v41, v40, s63                             // 0000000080B4: D1ED0064 00FE5129
	v_perm_b32 v101, v41, v40, s64                             // 0000000080BC: D1ED0065 01025129
	v_mfma_f32_16x16x16_f16 v[148:151], a[48:49], v[64:65], v[148:151]// 0000000080C4: D3CD0094 0E528130
	ds_read_b128 a[108:111], v12 offset:2688                   // 0000000080CC: DBFE0A80 6C00000C
	buffer_load_dword v39, v4, s[8:11], 0 idxen                // 0000000080D4: E0502000 80022704
	v_mfma_f32_16x16x16_f16 v[148:151], a[52:53], v[66:67], v[148:151]// 0000000080DC: D3CD0094 0E528534
	v_perm_b32 v102, v43, v42, s63                             // 0000000080E4: D1ED0066 00FE552B
	v_perm_b32 v103, v43, v42, s64                             // 0000000080EC: D1ED0067 0102552B
	v_mfma_f32_16x16x16_f16 v[148:151], a[56:57], v[68:69], v[148:151]// 0000000080F4: D3CD0094 0E528938
	ds_read_b128 v[108:111], v12 offset:8704                   // 0000000080FC: D9FE2200 6C00000C
	buffer_load_dword v44, v1, s[20:23], 0 idxen               // 000000008104: E0502000 80052C01
	v_mfma_f32_16x16x16_f16 v[148:151], a[60:61], v[70:71], v[148:151]// 00000000810C: D3CD0094 0E528D3C
	v_perm_b32 v104, v49, v48, s63                             // 000000008114: D1ED0068 00FE6131
	v_perm_b32 v105, v49, v48, s64                             // 00000000811C: D1ED0069 01026131
	v_mfma_f32_16x16x16_f16 v[148:151], a[64:65], v[72:73], v[148:151]// 000000008124: D3CD0094 0E529140
	ds_read_b128 v[112:115], v12 offset:9216                   // 00000000812C: D9FE2400 7000000C
	buffer_load_dword v45, v2, s[20:23], 0 idxen               // 000000008134: E0502000 80052D02
	v_mfma_f32_16x16x16_f16 v[148:151], a[68:69], v[74:75], v[148:151]// 00000000813C: D3CD0094 0E529544
	v_perm_b32 v106, v51, v50, s63                             // 000000008144: D1ED006A 00FE6533
	v_perm_b32 v107, v51, v50, s64                             // 00000000814C: D1ED006B 01026533
	v_mfma_f32_16x16x16_f16 v[152:155], a[26:27], v[52:53], 0  // 000000008154: D3CD0098 0A02691A
	ds_read_b128 v[116:119], v12 offset:10880                  // 00000000815C: D9FE2A80 7400000C
	buffer_load_dword v46, v3, s[20:23], 0 idxen               // 000000008164: E0502000 80052E03
	v_mfma_f32_16x16x16_f16 v[152:155], a[30:31], v[54:55], v[152:155]// 00000000816C: D3CD0098 0E626D1E
	v_mov_b32_dpp v143, v140 quad_perm:[3,3,3,3] row_mask:0xf bank_mask:0xf// 000000008174: 7F1E02FA FF00FF8C
	v_mov_b32_dpp v142, v140 quad_perm:[2,2,2,2] row_mask:0xf bank_mask:0xf// 00000000817C: 7F1C02FA FF00AA8C
	v_mov_b32_dpp v141, v140 quad_perm:[1,1,1,1] row_mask:0xf bank_mask:0xf// 000000008184: 7F1A02FA FF00558C
	v_mov_b32_dpp v140, v140 quad_perm:[0,0,0,0] row_mask:0xf bank_mask:0xf// 00000000818C: 7F1802FA FF00008C
	v_mfma_f32_16x16x16_f16 v[152:155], a[34:35], v[56:57], v[152:155]// 000000008194: D3CD0098 0E627122
	ds_read_b128 v[120:123], v12 offset:11392                  // 00000000819C: D9FE2C80 7800000C
	buffer_load_dword v47, v4, s[20:23], 0 idxen               // 0000000081A4: E0502000 80052F04
	v_mfma_f32_16x16x16_f16 v[152:155], a[38:39], v[58:59], v[152:155]// 0000000081AC: D3CD0098 0E627526
	v_mov_b32_dpp v147, v144 quad_perm:[3,3,3,3] row_mask:0xf bank_mask:0xf// 0000000081B4: 7F2602FA FF00FF90
	v_mov_b32_dpp v146, v144 quad_perm:[2,2,2,2] row_mask:0xf bank_mask:0xf// 0000000081BC: 7F2402FA FF00AA90
	v_mov_b32_dpp v145, v144 quad_perm:[1,1,1,1] row_mask:0xf bank_mask:0xf// 0000000081C4: 7F2202FA FF005590
	v_mov_b32_dpp v144, v144 quad_perm:[0,0,0,0] row_mask:0xf bank_mask:0xf// 0000000081CC: 7F2002FA FF000090
	s_add_u32 s60, 0x80, s59                                   // 0000000081D4: 803C3BFF 00000080
	v_mfma_f32_16x16x16_f16 v[152:155], a[42:43], v[60:61], v[152:155]// 0000000081DC: D3CD0098 0E62792A
	buffer_load_dword v11, s[24:27], 0 idxen lds               // 0000000081E4: E0512000 8006000B
	v_mfma_f32_16x16x16_f16 v[152:155], a[46:47], v[62:63], v[152:155]// 0000000081EC: D3CD0098 0E627D2E
	s_cmp_lt_u32 s60, s58                                      // 0000000081F4: BF0A3A3C
	s_cselect_b32 s68, s68, 0                                  // 0000000081F8: 85448044
	s_cselect_b32 s69, s69, 0                                  // 0000000081FC: 85458045
	v_mfma_f32_16x16x16_f16 v[152:155], a[50:51], v[64:65], v[152:155]// 000000008200: D3CD0098 0E628132
	s_add_u32 s8, s68, s8                                      // 000000008208: 80080844
	s_addc_u32 s9, 0, s9                                       // 00000000820C: 82090980
	v_mfma_f32_16x16x16_f16 v[152:155], a[54:55], v[66:67], v[152:155]// 000000008210: D3CD0098 0E628536
	s_add_u32 s20, s68, s20                                    // 000000008218: 80141444
	s_addc_u32 s21, 0, s21                                     // 00000000821C: 82151580
	v_mfma_f32_16x16x16_f16 v[152:155], a[58:59], v[68:69], v[152:155]// 000000008220: D3CD0098 0E62893A
	s_mov_b32 m0, s75                                          // 000000008228: BEFC004B
	v_add_u32_e32 v11, s69, v11                                // 00000000822C: 68161645
	v_mfma_f32_16x16x16_f16 v[152:155], a[62:63], v[70:71], v[152:155]// 000000008230: D3CD0098 0E628D3E
	s_cmp_ge_u32 s59, 32                                       // 000000008238: BF09A03B
	s_cselect_b32 s66, s67, s66                                // 00000000823C: 85424243
	v_mfma_f32_16x16x16_f16 v[152:155], a[66:67], v[72:73], v[152:155]// 000000008240: D3CD0098 0E629142
	s_addk_i32 s59, 0x20                                       // 000000008248: B73B0020
	s_nop 0                                                    // 00000000824C: BF800000
	s_cmp_lt_i32 s59, s58                                      // 000000008250: BF043A3B
	v_mfma_f32_16x16x16_f16 v[152:155], a[70:71], v[74:75], v[152:155]// 000000008254: D3CD0098 0E629546
	s_cbranch_scc0 label_0B57                                  // 00000000825C: BF84FA3F
	s_branch label_0B5A                                        // 000000008260: BF82FA41

0000000000008264 <label_1119>:
	s_add_u32 s32, s66, s32                                    // 000000008264: 80202042
	s_addc_u32 s33, 0, s33                                     // 000000008268: 82212180
	v_lshrrev_b32_e32 v32, 5, v0                               // 00000000826C: 20400085
	v_mul_i32_i24_e32 v27, 0x44, v32                           // 000000008270: 0C3640FF 00000044
	v_and_b32_e32 v32, 31, v0                                  // 000000008278: 2640009F
	v_mul_i32_i24_e32 v33, 2, v32                              // 00000000827C: 0C424082
	v_add_u32_e32 v27, v33, v27                                // 000000008280: 68363721
	s_mul_i32 s60, s47, 0x220                                  // 000000008284: 923CFF2F 00000220
	v_add_u32_e32 v27, s60, v27                                // 00000000828C: 6836363C
	v_lshlrev_b32_e32 v27, 2, v27                              // 000000008290: 24363682
	v_mul_f32_e32 v148, s48, v148                              // 000000008294: 0B292830
	v_mul_f32_e32 v149, s48, v149                              // 000000008298: 0B2B2A30
	v_mul_f32_e32 v150, s48, v150                              // 00000000829C: 0B2D2C30
	v_mul_f32_e32 v151, s48, v151                              // 0000000082A0: 0B2F2E30
	v_mul_f32_e32 v152, s48, v152                              // 0000000082A4: 0B313030
	v_mul_f32_e32 v153, s48, v153                              // 0000000082A8: 0B333230
	v_mul_f32_e32 v154, s48, v154                              // 0000000082AC: 0B353430
	v_mul_f32_e32 v155, s48, v155                              // 0000000082B0: 0B373630
	v_cvt_pkrtz_f16_f32 v148, v148, v149                       // 0000000082B4: D2960094 00032B94
	v_cvt_pkrtz_f16_f32 v149, v150, v151                       // 0000000082BC: D2960095 00032F96
	v_cvt_pkrtz_f16_f32 v150, v152, v153                       // 0000000082C4: D2960096 00033398
	v_cvt_pkrtz_f16_f32 v151, v154, v155                       // 0000000082CC: D2960097 0003379A
	ds_write_b64 v22, v[148:149] offset:31232                  // 0000000082D4: D89A7A00 00009416
	ds_write_b64 v22, v[150:151] offset:31776                  // 0000000082DC: D89A7C20 00009616
	s_waitcnt lgkmcnt(0)                                       // 0000000082E4: BF8CC07F
	s_barrier                                                  // 0000000082E8: BF8A0000
	ds_read_b32 v156, v21 offset:31232                         // 0000000082EC: D86C7A00 9C000015
	ds_read_b32 v157, v21 offset:31248                         // 0000000082F4: D86C7A10 9D000015
	ds_read_b32 v158, v21 offset:31264                         // 0000000082FC: D86C7A20 9E000015
	ds_read_b32 v159, v21 offset:31280                         // 000000008304: D86C7A30 9F000015
	s_waitcnt lgkmcnt(0)                                       // 00000000830C: BF8CC07F
	s_barrier                                                  // 000000008310: BF8A0000
	buffer_atomic_pk_add_f16 v156, v7, s[32:35], 0 idxen       // 000000008314: E1382000 80089C07
	buffer_atomic_pk_add_f16 v157, v8, s[32:35], 0 idxen       // 00000000831C: E1382000 80089D08
	buffer_atomic_pk_add_f16 v158, v9, s[32:35], 0 idxen       // 000000008324: E1382000 80089E09
	buffer_atomic_pk_add_f16 v159, v10, s[32:35], 0 idxen      // 00000000832C: E1382000 80089F0A
	v_lshrrev_b32_e32 v32, 3, v0                               // 000000008334: 20400083
	v_mul_i32_i24_e32 v26, 2, v32                              // 000000008338: 0C344082
	v_and_b32_e32 v32, 7, v0                                   // 00000000833C: 26400087
	v_mul_i32_i24_e32 v33, 0x44, v32                           // 000000008340: 0C4240FF 00000044
	v_add_u32_e32 v26, v33, v26                                // 000000008348: 68343521
	s_mul_i32 s60, s47, 0x220                                  // 00000000834C: 923CFF2F 00000220
	v_add_u32_e32 v26, s60, v26                                // 000000008354: 6834343C
	v_lshlrev_b32_e32 v26, 2, v26                              // 000000008358: 24343482
	v_accvgpr_read_b32 v32, a112                               // 00000000835C: D3D84020 18000170
	v_accvgpr_read_b32 v33, a113                               // 000000008364: D3D84021 18000171
	v_mul_f32_e32 v32, s48, v32                                // 00000000836C: 0A404030
	v_mul_f32_e32 v33, s48, v33                                // 000000008370: 0A424230
	v_cvt_pkrtz_f16_f32 v52, v32, v33                          // 000000008374: D2960034 00024320
	v_accvgpr_read_b32 v32, a114                               // 00000000837C: D3D84020 18000172
	v_accvgpr_read_b32 v33, a115                               // 000000008384: D3D84021 18000173
	v_mul_f32_e32 v32, s48, v32                                // 00000000838C: 0A404030
	v_mul_f32_e32 v33, s48, v33                                // 000000008390: 0A424230
	v_cvt_pkrtz_f16_f32 v53, v32, v33                          // 000000008394: D2960035 00024320
	v_accvgpr_read_b32 v32, a116                               // 00000000839C: D3D84020 18000174
	v_accvgpr_read_b32 v33, a117                               // 0000000083A4: D3D84021 18000175
	v_mul_f32_e32 v32, s48, v32                                // 0000000083AC: 0A404030
	v_mul_f32_e32 v33, s48, v33                                // 0000000083B0: 0A424230
	v_cvt_pkrtz_f16_f32 v54, v32, v33                          // 0000000083B4: D2960036 00024320
	v_accvgpr_read_b32 v32, a118                               // 0000000083BC: D3D84020 18000176
	v_accvgpr_read_b32 v33, a119                               // 0000000083C4: D3D84021 18000177
	v_mul_f32_e32 v32, s48, v32                                // 0000000083CC: 0A404030
	v_mul_f32_e32 v33, s48, v33                                // 0000000083D0: 0A424230
	v_cvt_pkrtz_f16_f32 v55, v32, v33                          // 0000000083D4: D2960037 00024320
	v_accvgpr_read_b32 v32, a120                               // 0000000083DC: D3D84020 18000178
	v_accvgpr_read_b32 v33, a121                               // 0000000083E4: D3D84021 18000179
	v_mul_f32_e32 v32, s48, v32                                // 0000000083EC: 0A404030
	v_mul_f32_e32 v33, s48, v33                                // 0000000083F0: 0A424230
	v_cvt_pkrtz_f16_f32 v56, v32, v33                          // 0000000083F4: D2960038 00024320
	v_accvgpr_read_b32 v32, a122                               // 0000000083FC: D3D84020 1800017A
	v_accvgpr_read_b32 v33, a123                               // 000000008404: D3D84021 1800017B
	v_mul_f32_e32 v32, s48, v32                                // 00000000840C: 0A404030
	v_mul_f32_e32 v33, s48, v33                                // 000000008410: 0A424230
	v_cvt_pkrtz_f16_f32 v57, v32, v33                          // 000000008414: D2960039 00024320
	v_accvgpr_read_b32 v32, a124                               // 00000000841C: D3D84020 1800017C
	v_accvgpr_read_b32 v33, a125                               // 000000008424: D3D84021 1800017D
	v_mul_f32_e32 v32, s48, v32                                // 00000000842C: 0A404030
	v_mul_f32_e32 v33, s48, v33                                // 000000008430: 0A424230
	v_cvt_pkrtz_f16_f32 v58, v32, v33                          // 000000008434: D296003A 00024320
	v_accvgpr_read_b32 v32, a126                               // 00000000843C: D3D84020 1800017E
	v_accvgpr_read_b32 v33, a127                               // 000000008444: D3D84021 1800017F
	v_mul_f32_e32 v32, s48, v32                                // 00000000844C: 0A404030
	v_mul_f32_e32 v33, s48, v33                                // 000000008450: 0A424230
	v_cvt_pkrtz_f16_f32 v59, v32, v33                          // 000000008454: D296003B 00024320
	ds_write_b64 v27, v[52:53]                                 // 00000000845C: D89A0000 0000341B
	ds_write_b64 v27, v[54:55] offset:544                      // 000000008464: D89A0220 0000361B
	ds_write_b64 v27, v[56:57] offset:1088                     // 00000000846C: D89A0440 0000381B
	ds_write_b64 v27, v[58:59] offset:1632                     // 000000008474: D89A0660 00003A1B
	s_waitcnt lgkmcnt(0)                                       // 00000000847C: BF8CC07F
	s_barrier                                                  // 000000008480: BF8A0000
	ds_read_b64 v[52:53], v26                                  // 000000008484: D8EC0000 3400001A
	ds_read_b64 v[54:55], v26 offset:128                       // 00000000848C: D8EC0080 3600001A
	ds_read_b64 v[56:57], v26 offset:64                        // 000000008494: D8EC0040 3800001A
	ds_read_b64 v[58:59], v26 offset:192                       // 00000000849C: D8EC00C0 3A00001A
	s_waitcnt lgkmcnt(0)                                       // 0000000084A4: BF8CC07F
	buffer_store_dwordx4 v[52:55], v5, s[36:39], 0 idxen       // 0000000084A8: E07C2000 80093405
	s_mul_i32 s60, 2, s46                                      // 0000000084B0: 923C2E82
	v_add_u32_e32 v5, s60, v5                                  // 0000000084B4: 680A0A3C
	buffer_store_dwordx4 v[56:59], v5, s[36:39], 0 idxen       // 0000000084B8: E07C2000 80093805
	s_mul_i32 s60, 2, s46                                      // 0000000084C0: 923C2E82
	v_add_u32_e32 v5, s60, v5                                  // 0000000084C4: 680A0A3C
	s_mul_i32 s60, 12, s46                                     // 0000000084C8: 923C2E8C
	v_add_u32_e32 v5, s60, v5                                  // 0000000084CC: 680A0A3C
	s_barrier                                                  // 0000000084D0: BF8A0000
	s_cmp_ge_i32 1, s73                                        // 0000000084D4: BF034981
	s_cbranch_scc1 label_1277                                  // 0000000084D8: BF8500C0
	v_accvgpr_read_b32 v32, a128                               // 0000000084DC: D3D84020 18000180
	v_accvgpr_read_b32 v33, a129                               // 0000000084E4: D3D84021 18000181
	v_mul_f32_e32 v32, s48, v32                                // 0000000084EC: 0A404030
	v_mul_f32_e32 v33, s48, v33                                // 0000000084F0: 0A424230
	v_cvt_pkrtz_f16_f32 v60, v32, v33                          // 0000000084F4: D296003C 00024320
	v_accvgpr_read_b32 v32, a130                               // 0000000084FC: D3D84020 18000182
	v_accvgpr_read_b32 v33, a131                               // 000000008504: D3D84021 18000183
	v_mul_f32_e32 v32, s48, v32                                // 00000000850C: 0A404030
	v_mul_f32_e32 v33, s48, v33                                // 000000008510: 0A424230
	v_cvt_pkrtz_f16_f32 v61, v32, v33                          // 000000008514: D296003D 00024320
	v_accvgpr_read_b32 v32, a132                               // 00000000851C: D3D84020 18000184
	v_accvgpr_read_b32 v33, a133                               // 000000008524: D3D84021 18000185
	v_mul_f32_e32 v32, s48, v32                                // 00000000852C: 0A404030
	v_mul_f32_e32 v33, s48, v33                                // 000000008530: 0A424230
	v_cvt_pkrtz_f16_f32 v62, v32, v33                          // 000000008534: D296003E 00024320
	v_accvgpr_read_b32 v32, a134                               // 00000000853C: D3D84020 18000186
	v_accvgpr_read_b32 v33, a135                               // 000000008544: D3D84021 18000187
	v_mul_f32_e32 v32, s48, v32                                // 00000000854C: 0A404030
	v_mul_f32_e32 v33, s48, v33                                // 000000008550: 0A424230
	v_cvt_pkrtz_f16_f32 v63, v32, v33                          // 000000008554: D296003F 00024320
	v_accvgpr_read_b32 v32, a136                               // 00000000855C: D3D84020 18000188
	v_accvgpr_read_b32 v33, a137                               // 000000008564: D3D84021 18000189
	v_mul_f32_e32 v32, s48, v32                                // 00000000856C: 0A404030
	v_mul_f32_e32 v33, s48, v33                                // 000000008570: 0A424230
	v_cvt_pkrtz_f16_f32 v64, v32, v33                          // 000000008574: D2960040 00024320
	v_accvgpr_read_b32 v32, a138                               // 00000000857C: D3D84020 1800018A
	v_accvgpr_read_b32 v33, a139                               // 000000008584: D3D84021 1800018B
	v_mul_f32_e32 v32, s48, v32                                // 00000000858C: 0A404030
	v_mul_f32_e32 v33, s48, v33                                // 000000008590: 0A424230
	v_cvt_pkrtz_f16_f32 v65, v32, v33                          // 000000008594: D2960041 00024320
	v_accvgpr_read_b32 v32, a140                               // 00000000859C: D3D84020 1800018C
	v_accvgpr_read_b32 v33, a141                               // 0000000085A4: D3D84021 1800018D
	v_mul_f32_e32 v32, s48, v32                                // 0000000085AC: 0A404030
	v_mul_f32_e32 v33, s48, v33                                // 0000000085B0: 0A424230
	v_cvt_pkrtz_f16_f32 v66, v32, v33                          // 0000000085B4: D2960042 00024320
	v_accvgpr_read_b32 v32, a142                               // 0000000085BC: D3D84020 1800018E
	v_accvgpr_read_b32 v33, a143                               // 0000000085C4: D3D84021 1800018F
	v_mul_f32_e32 v32, s48, v32                                // 0000000085CC: 0A404030
	v_mul_f32_e32 v33, s48, v33                                // 0000000085D0: 0A424230
	v_cvt_pkrtz_f16_f32 v67, v32, v33                          // 0000000085D4: D2960043 00024320
	ds_write_b64 v27, v[60:61] offset:8704                     // 0000000085DC: D89A2200 00003C1B
	ds_write_b64 v27, v[62:63] offset:9248                     // 0000000085E4: D89A2420 00003E1B
	ds_write_b64 v27, v[64:65] offset:9792                     // 0000000085EC: D89A2640 0000401B
	ds_write_b64 v27, v[66:67] offset:10336                    // 0000000085F4: D89A2860 0000421B
	s_waitcnt lgkmcnt(0)                                       // 0000000085FC: BF8CC07F
	s_barrier                                                  // 000000008600: BF8A0000
	ds_read_b64 v[60:61], v26 offset:8704                      // 000000008604: D8EC2200 3C00001A
	ds_read_b64 v[62:63], v26 offset:8832                      // 00000000860C: D8EC2280 3E00001A
	ds_read_b64 v[64:65], v26 offset:8768                      // 000000008614: D8EC2240 4000001A
	ds_read_b64 v[66:67], v26 offset:8896                      // 00000000861C: D8EC22C0 4200001A
	s_waitcnt lgkmcnt(0)                                       // 000000008624: BF8CC07F
	buffer_store_dwordx4 v[60:63], v5, s[36:39], 0 idxen       // 000000008628: E07C2000 80093C05
	s_mul_i32 s60, 2, s46                                      // 000000008630: 923C2E82
	v_add_u32_e32 v5, s60, v5                                  // 000000008634: 680A0A3C
	buffer_store_dwordx4 v[64:67], v5, s[36:39], 0 idxen       // 000000008638: E07C2000 80094005
	s_mul_i32 s60, 2, s46                                      // 000000008640: 923C2E82
	v_add_u32_e32 v5, s60, v5                                  // 000000008644: 680A0A3C
	s_mul_i32 s60, 12, s46                                     // 000000008648: 923C2E8C
	v_add_u32_e32 v5, s60, v5                                  // 00000000864C: 680A0A3C
	s_barrier                                                  // 000000008650: BF8A0000
	s_cmp_ge_i32 2, s73                                        // 000000008654: BF034982
	s_cbranch_scc1 label_1277                                  // 000000008658: BF850060
	v_accvgpr_read_b32 v32, a144                               // 00000000865C: D3D84020 18000190
	v_accvgpr_read_b32 v33, a145                               // 000000008664: D3D84021 18000191
	v_mul_f32_e32 v32, s48, v32                                // 00000000866C: 0A404030
	v_mul_f32_e32 v33, s48, v33                                // 000000008670: 0A424230
	v_cvt_pkrtz_f16_f32 v68, v32, v33                          // 000000008674: D2960044 00024320
	v_accvgpr_read_b32 v32, a146                               // 00000000867C: D3D84020 18000192
	v_accvgpr_read_b32 v33, a147                               // 000000008684: D3D84021 18000193
	v_mul_f32_e32 v32, s48, v32                                // 00000000868C: 0A404030
	v_mul_f32_e32 v33, s48, v33                                // 000000008690: 0A424230
	v_cvt_pkrtz_f16_f32 v69, v32, v33                          // 000000008694: D2960045 00024320
	v_accvgpr_read_b32 v32, a148                               // 00000000869C: D3D84020 18000194
	v_accvgpr_read_b32 v33, a149                               // 0000000086A4: D3D84021 18000195
	v_mul_f32_e32 v32, s48, v32                                // 0000000086AC: 0A404030
	v_mul_f32_e32 v33, s48, v33                                // 0000000086B0: 0A424230
	v_cvt_pkrtz_f16_f32 v70, v32, v33                          // 0000000086B4: D2960046 00024320
	v_accvgpr_read_b32 v32, a150                               // 0000000086BC: D3D84020 18000196
	v_accvgpr_read_b32 v33, a151                               // 0000000086C4: D3D84021 18000197
	v_mul_f32_e32 v32, s48, v32                                // 0000000086CC: 0A404030
	v_mul_f32_e32 v33, s48, v33                                // 0000000086D0: 0A424230
	v_cvt_pkrtz_f16_f32 v71, v32, v33                          // 0000000086D4: D2960047 00024320
	v_accvgpr_read_b32 v32, a152                               // 0000000086DC: D3D84020 18000198
	v_accvgpr_read_b32 v33, a153                               // 0000000086E4: D3D84021 18000199
	v_mul_f32_e32 v32, s48, v32                                // 0000000086EC: 0A404030
	v_mul_f32_e32 v33, s48, v33                                // 0000000086F0: 0A424230
	v_cvt_pkrtz_f16_f32 v72, v32, v33                          // 0000000086F4: D2960048 00024320
	v_accvgpr_read_b32 v32, a154                               // 0000000086FC: D3D84020 1800019A
	v_accvgpr_read_b32 v33, a155                               // 000000008704: D3D84021 1800019B
	v_mul_f32_e32 v32, s48, v32                                // 00000000870C: 0A404030
	v_mul_f32_e32 v33, s48, v33                                // 000000008710: 0A424230
	v_cvt_pkrtz_f16_f32 v73, v32, v33                          // 000000008714: D2960049 00024320
	v_accvgpr_read_b32 v32, a156                               // 00000000871C: D3D84020 1800019C
	v_accvgpr_read_b32 v33, a157                               // 000000008724: D3D84021 1800019D
	v_mul_f32_e32 v32, s48, v32                                // 00000000872C: 0A404030
	v_mul_f32_e32 v33, s48, v33                                // 000000008730: 0A424230
	v_cvt_pkrtz_f16_f32 v74, v32, v33                          // 000000008734: D296004A 00024320
	v_accvgpr_read_b32 v32, a158                               // 00000000873C: D3D84020 1800019E
	v_accvgpr_read_b32 v33, a159                               // 000000008744: D3D84021 1800019F
	v_mul_f32_e32 v32, s48, v32                                // 00000000874C: 0A404030
	v_mul_f32_e32 v33, s48, v33                                // 000000008750: 0A424230
	v_cvt_pkrtz_f16_f32 v75, v32, v33                          // 000000008754: D296004B 00024320
	ds_write_b64 v27, v[68:69] offset:17408                    // 00000000875C: D89A4400 0000441B
	ds_write_b64 v27, v[70:71] offset:17952                    // 000000008764: D89A4620 0000461B
	ds_write_b64 v27, v[72:73] offset:18496                    // 00000000876C: D89A4840 0000481B
	ds_write_b64 v27, v[74:75] offset:19040                    // 000000008774: D89A4A60 00004A1B
	s_waitcnt lgkmcnt(0)                                       // 00000000877C: BF8CC07F
	s_barrier                                                  // 000000008780: BF8A0000
	ds_read_b64 v[68:69], v26 offset:17408                     // 000000008784: D8EC4400 4400001A
	ds_read_b64 v[70:71], v26 offset:17536                     // 00000000878C: D8EC4480 4600001A
	ds_read_b64 v[72:73], v26 offset:17472                     // 000000008794: D8EC4440 4800001A
	ds_read_b64 v[74:75], v26 offset:17600                     // 00000000879C: D8EC44C0 4A00001A
	s_waitcnt lgkmcnt(0)                                       // 0000000087A4: BF8CC07F
	buffer_store_dwordx4 v[68:71], v5, s[36:39], 0 idxen       // 0000000087A8: E07C2000 80094405
	s_mul_i32 s60, 2, s46                                      // 0000000087B0: 923C2E82
	v_add_u32_e32 v5, s60, v5                                  // 0000000087B4: 680A0A3C
	buffer_store_dwordx4 v[72:75], v5, s[36:39], 0 idxen       // 0000000087B8: E07C2000 80094805
	s_mul_i32 s60, 2, s46                                      // 0000000087C0: 923C2E82
	v_add_u32_e32 v5, s60, v5                                  // 0000000087C4: 680A0A3C
	s_mul_i32 s60, 12, s46                                     // 0000000087C8: 923C2E8C
	v_add_u32_e32 v5, s60, v5                                  // 0000000087CC: 680A0A3C
	s_barrier                                                  // 0000000087D0: BF8A0000
	s_cmp_ge_i32 3, s73                                        // 0000000087D4: BF034983
	s_cbranch_scc1 label_1277                                  // 0000000087D8: BF850000

00000000000087dc <label_1277>:
	v_mov_b32_e32 v32, v178                                    // 0000000087DC: 7E4003B2
	v_mov_b32_e32 v33, v179                                    // 0000000087E0: 7E4203B3
	v_cvt_pkrtz_f16_f32 v178, v32, v33                         // 0000000087E4: D29600B2 00024320
	v_mov_b32_e32 v32, v180                                    // 0000000087EC: 7E4003B4
	v_mov_b32_e32 v33, v181                                    // 0000000087F0: 7E4203B5
	v_cvt_pkrtz_f16_f32 v179, v32, v33                         // 0000000087F4: D29600B3 00024320
	v_mov_b32_e32 v32, v182                                    // 0000000087FC: 7E4003B6
	v_mov_b32_e32 v33, v183                                    // 000000008800: 7E4203B7
	v_cvt_pkrtz_f16_f32 v180, v32, v33                         // 000000008804: D29600B4 00024320
	v_mov_b32_e32 v32, v184                                    // 00000000880C: 7E4003B8
	v_mov_b32_e32 v33, v185                                    // 000000008810: 7E4203B9
	v_cvt_pkrtz_f16_f32 v181, v32, v33                         // 000000008814: D29600B5 00024320
	v_mov_b32_e32 v32, v186                                    // 00000000881C: 7E4003BA
	v_mov_b32_e32 v33, v187                                    // 000000008820: 7E4203BB
	v_cvt_pkrtz_f16_f32 v182, v32, v33                         // 000000008824: D29600B6 00024320
	v_mov_b32_e32 v32, v188                                    // 00000000882C: 7E4003BC
	v_mov_b32_e32 v33, v189                                    // 000000008830: 7E4203BD
	v_cvt_pkrtz_f16_f32 v183, v32, v33                         // 000000008834: D29600B7 00024320
	v_mov_b32_e32 v32, v190                                    // 00000000883C: 7E4003BE
	v_mov_b32_e32 v33, v191                                    // 000000008840: 7E4203BF
	v_cvt_pkrtz_f16_f32 v184, v32, v33                         // 000000008844: D29600B8 00024320
	v_mov_b32_e32 v32, v192                                    // 00000000884C: 7E4003C0
	v_mov_b32_e32 v33, v193                                    // 000000008850: 7E4203C1
	v_cvt_pkrtz_f16_f32 v185, v32, v33                         // 000000008854: D29600B9 00024320
	ds_write_b64 v27, v[178:179]                               // 00000000885C: D89A0000 0000B21B
	ds_write_b64 v27, v[180:181] offset:544                    // 000000008864: D89A0220 0000B41B
	ds_write_b64 v27, v[182:183] offset:1088                   // 00000000886C: D89A0440 0000B61B
	ds_write_b64 v27, v[184:185] offset:1632                   // 000000008874: D89A0660 0000B81B
	s_waitcnt lgkmcnt(0)                                       // 00000000887C: BF8CC07F
	s_barrier                                                  // 000000008880: BF8A0000
	ds_read_b64 v[178:179], v26                                // 000000008884: D8EC0000 B200001A
	ds_read_b64 v[180:181], v26 offset:128                     // 00000000888C: D8EC0080 B400001A
	ds_read_b64 v[182:183], v26 offset:64                      // 000000008894: D8EC0040 B600001A
	ds_read_b64 v[184:185], v26 offset:192                     // 00000000889C: D8EC00C0 B800001A
	s_waitcnt lgkmcnt(0)                                       // 0000000088A4: BF8CC07F
	buffer_store_dwordx4 v[178:181], v6, s[40:43], 0 idxen     // 0000000088A8: E07C2000 800AB206
	s_mul_i32 s60, 2, s46                                      // 0000000088B0: 923C2E82
	v_add_u32_e32 v6, s60, v6                                  // 0000000088B4: 680C0C3C
	buffer_store_dwordx4 v[182:185], v6, s[40:43], 0 idxen     // 0000000088B8: E07C2000 800AB606
	s_mul_i32 s60, 2, s46                                      // 0000000088C0: 923C2E82
	v_add_u32_e32 v6, s60, v6                                  // 0000000088C4: 680C0C3C
	s_mul_i32 s60, 12, s46                                     // 0000000088C8: 923C2E8C
	v_add_u32_e32 v6, s60, v6                                  // 0000000088CC: 680C0C3C
	s_cmp_ge_i32 1, s73                                        // 0000000088D0: BF034981
	s_cbranch_scc1 label_1334                                  // 0000000088D4: BF85007E
	v_mov_b32_e32 v32, v194                                    // 0000000088D8: 7E4003C2
	v_mov_b32_e32 v33, v195                                    // 0000000088DC: 7E4203C3
	v_cvt_pkrtz_f16_f32 v186, v32, v33                         // 0000000088E0: D29600BA 00024320
	v_mov_b32_e32 v32, v196                                    // 0000000088E8: 7E4003C4
	v_mov_b32_e32 v33, v197                                    // 0000000088EC: 7E4203C5
	v_cvt_pkrtz_f16_f32 v187, v32, v33                         // 0000000088F0: D29600BB 00024320
	v_mov_b32_e32 v32, v198                                    // 0000000088F8: 7E4003C6
	v_mov_b32_e32 v33, v199                                    // 0000000088FC: 7E4203C7
	v_cvt_pkrtz_f16_f32 v188, v32, v33                         // 000000008900: D29600BC 00024320
	v_mov_b32_e32 v32, v200                                    // 000000008908: 7E4003C8
	v_mov_b32_e32 v33, v201                                    // 00000000890C: 7E4203C9
	v_cvt_pkrtz_f16_f32 v189, v32, v33                         // 000000008910: D29600BD 00024320
	v_mov_b32_e32 v32, v202                                    // 000000008918: 7E4003CA
	v_mov_b32_e32 v33, v203                                    // 00000000891C: 7E4203CB
	v_cvt_pkrtz_f16_f32 v190, v32, v33                         // 000000008920: D29600BE 00024320
	v_mov_b32_e32 v32, v204                                    // 000000008928: 7E4003CC
	v_mov_b32_e32 v33, v205                                    // 00000000892C: 7E4203CD
	v_cvt_pkrtz_f16_f32 v191, v32, v33                         // 000000008930: D29600BF 00024320
	v_mov_b32_e32 v32, v206                                    // 000000008938: 7E4003CE
	v_mov_b32_e32 v33, v207                                    // 00000000893C: 7E4203CF
	v_cvt_pkrtz_f16_f32 v192, v32, v33                         // 000000008940: D29600C0 00024320
	v_mov_b32_e32 v32, v208                                    // 000000008948: 7E4003D0
	v_mov_b32_e32 v33, v209                                    // 00000000894C: 7E4203D1
	v_cvt_pkrtz_f16_f32 v193, v32, v33                         // 000000008950: D29600C1 00024320
	ds_write_b64 v27, v[186:187] offset:8704                   // 000000008958: D89A2200 0000BA1B
	ds_write_b64 v27, v[188:189] offset:9248                   // 000000008960: D89A2420 0000BC1B
	ds_write_b64 v27, v[190:191] offset:9792                   // 000000008968: D89A2640 0000BE1B
	ds_write_b64 v27, v[192:193] offset:10336                  // 000000008970: D89A2860 0000C01B
	s_waitcnt lgkmcnt(0)                                       // 000000008978: BF8CC07F
	s_barrier                                                  // 00000000897C: BF8A0000
	ds_read_b64 v[186:187], v26 offset:8704                    // 000000008980: D8EC2200 BA00001A
	ds_read_b64 v[188:189], v26 offset:8832                    // 000000008988: D8EC2280 BC00001A
	ds_read_b64 v[190:191], v26 offset:8768                    // 000000008990: D8EC2240 BE00001A
	ds_read_b64 v[192:193], v26 offset:8896                    // 000000008998: D8EC22C0 C000001A
	s_waitcnt lgkmcnt(0)                                       // 0000000089A0: BF8CC07F
	buffer_store_dwordx4 v[186:189], v6, s[40:43], 0 idxen     // 0000000089A4: E07C2000 800ABA06
	s_mul_i32 s60, 2, s46                                      // 0000000089AC: 923C2E82
	v_add_u32_e32 v6, s60, v6                                  // 0000000089B0: 680C0C3C
	buffer_store_dwordx4 v[190:193], v6, s[40:43], 0 idxen     // 0000000089B4: E07C2000 800ABE06
	s_mul_i32 s60, 2, s46                                      // 0000000089BC: 923C2E82
	v_add_u32_e32 v6, s60, v6                                  // 0000000089C0: 680C0C3C
	s_mul_i32 s60, 12, s46                                     // 0000000089C4: 923C2E8C
	v_add_u32_e32 v6, s60, v6                                  // 0000000089C8: 680C0C3C
	s_cmp_ge_i32 2, s73                                        // 0000000089CC: BF034982
	s_cbranch_scc1 label_1334                                  // 0000000089D0: BF85003F
	v_mov_b32_e32 v32, v210                                    // 0000000089D4: 7E4003D2
	v_mov_b32_e32 v33, v211                                    // 0000000089D8: 7E4203D3
	v_cvt_pkrtz_f16_f32 v194, v32, v33                         // 0000000089DC: D29600C2 00024320
	v_mov_b32_e32 v32, v212                                    // 0000000089E4: 7E4003D4
	v_mov_b32_e32 v33, v213                                    // 0000000089E8: 7E4203D5
	v_cvt_pkrtz_f16_f32 v195, v32, v33                         // 0000000089EC: D29600C3 00024320
	v_mov_b32_e32 v32, v214                                    // 0000000089F4: 7E4003D6
	v_mov_b32_e32 v33, v215                                    // 0000000089F8: 7E4203D7
	v_cvt_pkrtz_f16_f32 v196, v32, v33                         // 0000000089FC: D29600C4 00024320
	v_mov_b32_e32 v32, v216                                    // 000000008A04: 7E4003D8
	v_mov_b32_e32 v33, v217                                    // 000000008A08: 7E4203D9
	v_cvt_pkrtz_f16_f32 v197, v32, v33                         // 000000008A0C: D29600C5 00024320
	v_mov_b32_e32 v32, v218                                    // 000000008A14: 7E4003DA
	v_mov_b32_e32 v33, v219                                    // 000000008A18: 7E4203DB
	v_cvt_pkrtz_f16_f32 v198, v32, v33                         // 000000008A1C: D29600C6 00024320
	v_mov_b32_e32 v32, v220                                    // 000000008A24: 7E4003DC
	v_mov_b32_e32 v33, v221                                    // 000000008A28: 7E4203DD
	v_cvt_pkrtz_f16_f32 v199, v32, v33                         // 000000008A2C: D29600C7 00024320
	v_mov_b32_e32 v32, v222                                    // 000000008A34: 7E4003DE
	v_mov_b32_e32 v33, v223                                    // 000000008A38: 7E4203DF
	v_cvt_pkrtz_f16_f32 v200, v32, v33                         // 000000008A3C: D29600C8 00024320
	v_mov_b32_e32 v32, v224                                    // 000000008A44: 7E4003E0
	v_mov_b32_e32 v33, v225                                    // 000000008A48: 7E4203E1
	v_cvt_pkrtz_f16_f32 v201, v32, v33                         // 000000008A4C: D29600C9 00024320
	ds_write_b64 v27, v[194:195] offset:17408                  // 000000008A54: D89A4400 0000C21B
	ds_write_b64 v27, v[196:197] offset:17952                  // 000000008A5C: D89A4620 0000C41B
	ds_write_b64 v27, v[198:199] offset:18496                  // 000000008A64: D89A4840 0000C61B
	ds_write_b64 v27, v[200:201] offset:19040                  // 000000008A6C: D89A4A60 0000C81B
	s_waitcnt lgkmcnt(0)                                       // 000000008A74: BF8CC07F
	s_barrier                                                  // 000000008A78: BF8A0000
	ds_read_b64 v[194:195], v26 offset:17408                   // 000000008A7C: D8EC4400 C200001A
	ds_read_b64 v[196:197], v26 offset:17536                   // 000000008A84: D8EC4480 C400001A
	ds_read_b64 v[198:199], v26 offset:17472                   // 000000008A8C: D8EC4440 C600001A
	ds_read_b64 v[200:201], v26 offset:17600                   // 000000008A94: D8EC44C0 C800001A
	s_waitcnt lgkmcnt(0)                                       // 000000008A9C: BF8CC07F
	buffer_store_dwordx4 v[194:197], v6, s[40:43], 0 idxen     // 000000008AA0: E07C2000 800AC206
	s_mul_i32 s60, 2, s46                                      // 000000008AA8: 923C2E82
	v_add_u32_e32 v6, s60, v6                                  // 000000008AAC: 680C0C3C
	buffer_store_dwordx4 v[198:201], v6, s[40:43], 0 idxen     // 000000008AB0: E07C2000 800AC606
	s_mul_i32 s60, 2, s46                                      // 000000008AB8: 923C2E82
	v_add_u32_e32 v6, s60, v6                                  // 000000008ABC: 680C0C3C
	s_mul_i32 s60, 12, s46                                     // 000000008AC0: 923C2E8C
	v_add_u32_e32 v6, s60, v6                                  // 000000008AC4: 680C0C3C
	s_cmp_ge_i32 3, s73                                        // 000000008AC8: BF034983
	s_cbranch_scc1 label_1334                                  // 000000008ACC: BF850000

0000000000008ad0 <label_1334>:
	s_waitcnt vmcnt(0) expcnt(0) lgkmcnt(0)                    // 000000008AD0: BF8C0000
	s_endpgm                                                   // 000000008AD4: BF810000
